;; amdgpu-corpus repo=ROCm/rocFFT kind=compiled arch=gfx1201 opt=O3
	.text
	.amdgcn_target "amdgcn-amd-amdhsa--gfx1201"
	.amdhsa_code_object_version 6
	.protected	fft_rtc_fwd_len1728_factors_3_6_6_16_wgs_108_tpt_108_halfLds_sp_op_CI_CI_unitstride_sbrr_R2C_dirReg ; -- Begin function fft_rtc_fwd_len1728_factors_3_6_6_16_wgs_108_tpt_108_halfLds_sp_op_CI_CI_unitstride_sbrr_R2C_dirReg
	.globl	fft_rtc_fwd_len1728_factors_3_6_6_16_wgs_108_tpt_108_halfLds_sp_op_CI_CI_unitstride_sbrr_R2C_dirReg
	.p2align	8
	.type	fft_rtc_fwd_len1728_factors_3_6_6_16_wgs_108_tpt_108_halfLds_sp_op_CI_CI_unitstride_sbrr_R2C_dirReg,@function
fft_rtc_fwd_len1728_factors_3_6_6_16_wgs_108_tpt_108_halfLds_sp_op_CI_CI_unitstride_sbrr_R2C_dirReg: ; @fft_rtc_fwd_len1728_factors_3_6_6_16_wgs_108_tpt_108_halfLds_sp_op_CI_CI_unitstride_sbrr_R2C_dirReg
; %bb.0:
	s_clause 0x2
	s_load_b128 s[8:11], s[0:1], 0x0
	s_load_b128 s[4:7], s[0:1], 0x58
	;; [unrolled: 1-line block ×3, first 2 shown]
	v_mul_u32_u24_e32 v1, 0x25f, v0
	v_mov_b32_e32 v3, 0
	s_delay_alu instid0(VALU_DEP_2) | instskip(NEXT) | instid1(VALU_DEP_1)
	v_lshrrev_b32_e32 v1, 16, v1
	v_add_nc_u32_e32 v5, ttmp9, v1
	v_mov_b32_e32 v1, 0
	v_mov_b32_e32 v2, 0
	;; [unrolled: 1-line block ×3, first 2 shown]
	s_wait_kmcnt 0x0
	v_cmp_lt_u64_e64 s2, s[10:11], 2
	s_delay_alu instid0(VALU_DEP_1)
	s_and_b32 vcc_lo, exec_lo, s2
	s_cbranch_vccnz .LBB0_8
; %bb.1:
	s_load_b64 s[2:3], s[0:1], 0x10
	v_mov_b32_e32 v1, 0
	v_mov_b32_e32 v2, 0
	s_add_nc_u64 s[16:17], s[14:15], 8
	s_add_nc_u64 s[18:19], s[12:13], 8
	s_mov_b64 s[20:21], 1
	s_delay_alu instid0(VALU_DEP_1)
	v_dual_mov_b32 v25, v2 :: v_dual_mov_b32 v24, v1
	s_wait_kmcnt 0x0
	s_add_nc_u64 s[22:23], s[2:3], 8
	s_mov_b32 s3, 0
.LBB0_2:                                ; =>This Inner Loop Header: Depth=1
	s_load_b64 s[24:25], s[22:23], 0x0
                                        ; implicit-def: $vgpr30_vgpr31
	s_mov_b32 s2, exec_lo
	s_wait_kmcnt 0x0
	v_or_b32_e32 v4, s25, v6
	s_delay_alu instid0(VALU_DEP_1)
	v_cmpx_ne_u64_e32 0, v[3:4]
	s_wait_alu 0xfffe
	s_xor_b32 s26, exec_lo, s2
	s_cbranch_execz .LBB0_4
; %bb.3:                                ;   in Loop: Header=BB0_2 Depth=1
	s_cvt_f32_u32 s2, s24
	s_cvt_f32_u32 s27, s25
	s_sub_nc_u64 s[30:31], 0, s[24:25]
	s_wait_alu 0xfffe
	s_delay_alu instid0(SALU_CYCLE_1) | instskip(SKIP_1) | instid1(SALU_CYCLE_2)
	s_fmamk_f32 s2, s27, 0x4f800000, s2
	s_wait_alu 0xfffe
	v_s_rcp_f32 s2, s2
	s_delay_alu instid0(TRANS32_DEP_1) | instskip(SKIP_1) | instid1(SALU_CYCLE_2)
	s_mul_f32 s2, s2, 0x5f7ffffc
	s_wait_alu 0xfffe
	s_mul_f32 s27, s2, 0x2f800000
	s_wait_alu 0xfffe
	s_delay_alu instid0(SALU_CYCLE_2) | instskip(SKIP_1) | instid1(SALU_CYCLE_2)
	s_trunc_f32 s27, s27
	s_wait_alu 0xfffe
	s_fmamk_f32 s2, s27, 0xcf800000, s2
	s_cvt_u32_f32 s29, s27
	s_wait_alu 0xfffe
	s_delay_alu instid0(SALU_CYCLE_1) | instskip(SKIP_1) | instid1(SALU_CYCLE_2)
	s_cvt_u32_f32 s28, s2
	s_wait_alu 0xfffe
	s_mul_u64 s[34:35], s[30:31], s[28:29]
	s_wait_alu 0xfffe
	s_mul_hi_u32 s37, s28, s35
	s_mul_i32 s36, s28, s35
	s_mul_hi_u32 s2, s28, s34
	s_mul_i32 s33, s29, s34
	s_wait_alu 0xfffe
	s_add_nc_u64 s[36:37], s[2:3], s[36:37]
	s_mul_hi_u32 s27, s29, s34
	s_mul_hi_u32 s38, s29, s35
	s_add_co_u32 s2, s36, s33
	s_wait_alu 0xfffe
	s_add_co_ci_u32 s2, s37, s27
	s_mul_i32 s34, s29, s35
	s_add_co_ci_u32 s35, s38, 0
	s_wait_alu 0xfffe
	s_add_nc_u64 s[34:35], s[2:3], s[34:35]
	s_wait_alu 0xfffe
	v_add_co_u32 v4, s2, s28, s34
	s_delay_alu instid0(VALU_DEP_1) | instskip(SKIP_1) | instid1(VALU_DEP_1)
	s_cmp_lg_u32 s2, 0
	s_add_co_ci_u32 s29, s29, s35
	v_readfirstlane_b32 s28, v4
	s_wait_alu 0xfffe
	s_delay_alu instid0(VALU_DEP_1)
	s_mul_u64 s[30:31], s[30:31], s[28:29]
	s_wait_alu 0xfffe
	s_mul_hi_u32 s35, s28, s31
	s_mul_i32 s34, s28, s31
	s_mul_hi_u32 s2, s28, s30
	s_mul_i32 s33, s29, s30
	s_wait_alu 0xfffe
	s_add_nc_u64 s[34:35], s[2:3], s[34:35]
	s_mul_hi_u32 s27, s29, s30
	s_mul_hi_u32 s28, s29, s31
	s_wait_alu 0xfffe
	s_add_co_u32 s2, s34, s33
	s_add_co_ci_u32 s2, s35, s27
	s_mul_i32 s30, s29, s31
	s_add_co_ci_u32 s31, s28, 0
	s_wait_alu 0xfffe
	s_add_nc_u64 s[30:31], s[2:3], s[30:31]
	s_wait_alu 0xfffe
	v_add_co_u32 v4, s2, v4, s30
	s_delay_alu instid0(VALU_DEP_1) | instskip(SKIP_1) | instid1(VALU_DEP_1)
	s_cmp_lg_u32 s2, 0
	s_add_co_ci_u32 s2, s29, s31
	v_mul_hi_u32 v13, v5, v4
	s_wait_alu 0xfffe
	v_mad_co_u64_u32 v[7:8], null, v5, s2, 0
	v_mad_co_u64_u32 v[9:10], null, v6, v4, 0
	;; [unrolled: 1-line block ×3, first 2 shown]
	s_delay_alu instid0(VALU_DEP_3) | instskip(SKIP_1) | instid1(VALU_DEP_4)
	v_add_co_u32 v4, vcc_lo, v13, v7
	s_wait_alu 0xfffd
	v_add_co_ci_u32_e32 v7, vcc_lo, 0, v8, vcc_lo
	s_delay_alu instid0(VALU_DEP_2) | instskip(SKIP_1) | instid1(VALU_DEP_2)
	v_add_co_u32 v4, vcc_lo, v4, v9
	s_wait_alu 0xfffd
	v_add_co_ci_u32_e32 v4, vcc_lo, v7, v10, vcc_lo
	s_wait_alu 0xfffd
	v_add_co_ci_u32_e32 v7, vcc_lo, 0, v12, vcc_lo
	s_delay_alu instid0(VALU_DEP_2) | instskip(SKIP_1) | instid1(VALU_DEP_2)
	v_add_co_u32 v4, vcc_lo, v4, v11
	s_wait_alu 0xfffd
	v_add_co_ci_u32_e32 v9, vcc_lo, 0, v7, vcc_lo
	s_delay_alu instid0(VALU_DEP_2) | instskip(SKIP_1) | instid1(VALU_DEP_3)
	v_mul_lo_u32 v10, s25, v4
	v_mad_co_u64_u32 v[7:8], null, s24, v4, 0
	v_mul_lo_u32 v11, s24, v9
	s_delay_alu instid0(VALU_DEP_2) | instskip(NEXT) | instid1(VALU_DEP_2)
	v_sub_co_u32 v7, vcc_lo, v5, v7
	v_add3_u32 v8, v8, v11, v10
	s_delay_alu instid0(VALU_DEP_1) | instskip(SKIP_1) | instid1(VALU_DEP_1)
	v_sub_nc_u32_e32 v10, v6, v8
	s_wait_alu 0xfffd
	v_subrev_co_ci_u32_e64 v10, s2, s25, v10, vcc_lo
	v_add_co_u32 v11, s2, v4, 2
	s_wait_alu 0xf1ff
	v_add_co_ci_u32_e64 v12, s2, 0, v9, s2
	v_sub_co_u32 v13, s2, v7, s24
	v_sub_co_ci_u32_e32 v8, vcc_lo, v6, v8, vcc_lo
	s_wait_alu 0xf1ff
	v_subrev_co_ci_u32_e64 v10, s2, 0, v10, s2
	s_delay_alu instid0(VALU_DEP_3) | instskip(NEXT) | instid1(VALU_DEP_3)
	v_cmp_le_u32_e32 vcc_lo, s24, v13
	v_cmp_eq_u32_e64 s2, s25, v8
	s_wait_alu 0xfffd
	v_cndmask_b32_e64 v13, 0, -1, vcc_lo
	v_cmp_le_u32_e32 vcc_lo, s25, v10
	s_wait_alu 0xfffd
	v_cndmask_b32_e64 v14, 0, -1, vcc_lo
	v_cmp_le_u32_e32 vcc_lo, s24, v7
	;; [unrolled: 3-line block ×3, first 2 shown]
	s_wait_alu 0xfffd
	v_cndmask_b32_e64 v15, 0, -1, vcc_lo
	v_cmp_eq_u32_e32 vcc_lo, s25, v10
	s_wait_alu 0xf1ff
	s_delay_alu instid0(VALU_DEP_2)
	v_cndmask_b32_e64 v7, v15, v7, s2
	s_wait_alu 0xfffd
	v_cndmask_b32_e32 v10, v14, v13, vcc_lo
	v_add_co_u32 v13, vcc_lo, v4, 1
	s_wait_alu 0xfffd
	v_add_co_ci_u32_e32 v14, vcc_lo, 0, v9, vcc_lo
	s_delay_alu instid0(VALU_DEP_3) | instskip(SKIP_1) | instid1(VALU_DEP_2)
	v_cmp_ne_u32_e32 vcc_lo, 0, v10
	s_wait_alu 0xfffd
	v_cndmask_b32_e32 v8, v14, v12, vcc_lo
	v_cndmask_b32_e32 v10, v13, v11, vcc_lo
	v_cmp_ne_u32_e32 vcc_lo, 0, v7
	s_wait_alu 0xfffd
	s_delay_alu instid0(VALU_DEP_2)
	v_dual_cndmask_b32 v31, v9, v8 :: v_dual_cndmask_b32 v30, v4, v10
.LBB0_4:                                ;   in Loop: Header=BB0_2 Depth=1
	s_wait_alu 0xfffe
	s_and_not1_saveexec_b32 s2, s26
	s_cbranch_execz .LBB0_6
; %bb.5:                                ;   in Loop: Header=BB0_2 Depth=1
	v_cvt_f32_u32_e32 v4, s24
	s_sub_co_i32 s26, 0, s24
	v_mov_b32_e32 v31, v3
	s_delay_alu instid0(VALU_DEP_2) | instskip(NEXT) | instid1(TRANS32_DEP_1)
	v_rcp_iflag_f32_e32 v4, v4
	v_mul_f32_e32 v4, 0x4f7ffffe, v4
	s_delay_alu instid0(VALU_DEP_1) | instskip(SKIP_1) | instid1(VALU_DEP_1)
	v_cvt_u32_f32_e32 v4, v4
	s_wait_alu 0xfffe
	v_mul_lo_u32 v7, s26, v4
	s_delay_alu instid0(VALU_DEP_1) | instskip(NEXT) | instid1(VALU_DEP_1)
	v_mul_hi_u32 v7, v4, v7
	v_add_nc_u32_e32 v4, v4, v7
	s_delay_alu instid0(VALU_DEP_1) | instskip(NEXT) | instid1(VALU_DEP_1)
	v_mul_hi_u32 v4, v5, v4
	v_mul_lo_u32 v7, v4, s24
	v_add_nc_u32_e32 v8, 1, v4
	s_delay_alu instid0(VALU_DEP_2) | instskip(NEXT) | instid1(VALU_DEP_1)
	v_sub_nc_u32_e32 v7, v5, v7
	v_subrev_nc_u32_e32 v9, s24, v7
	v_cmp_le_u32_e32 vcc_lo, s24, v7
	s_wait_alu 0xfffd
	s_delay_alu instid0(VALU_DEP_2) | instskip(NEXT) | instid1(VALU_DEP_1)
	v_dual_cndmask_b32 v7, v7, v9 :: v_dual_cndmask_b32 v4, v4, v8
	v_cmp_le_u32_e32 vcc_lo, s24, v7
	s_delay_alu instid0(VALU_DEP_2) | instskip(SKIP_1) | instid1(VALU_DEP_1)
	v_add_nc_u32_e32 v8, 1, v4
	s_wait_alu 0xfffd
	v_cndmask_b32_e32 v30, v4, v8, vcc_lo
.LBB0_6:                                ;   in Loop: Header=BB0_2 Depth=1
	s_wait_alu 0xfffe
	s_or_b32 exec_lo, exec_lo, s2
	v_mul_lo_u32 v4, v31, s24
	s_delay_alu instid0(VALU_DEP_2)
	v_mul_lo_u32 v9, v30, s25
	s_load_b64 s[26:27], s[18:19], 0x0
	v_mad_co_u64_u32 v[7:8], null, v30, s24, 0
	s_load_b64 s[24:25], s[16:17], 0x0
	s_add_nc_u64 s[20:21], s[20:21], 1
	s_add_nc_u64 s[16:17], s[16:17], 8
	s_wait_alu 0xfffe
	v_cmp_ge_u64_e64 s2, s[20:21], s[10:11]
	s_add_nc_u64 s[18:19], s[18:19], 8
	s_add_nc_u64 s[22:23], s[22:23], 8
	v_add3_u32 v4, v8, v9, v4
	v_sub_co_u32 v5, vcc_lo, v5, v7
	s_wait_alu 0xfffd
	s_delay_alu instid0(VALU_DEP_2) | instskip(SKIP_2) | instid1(VALU_DEP_1)
	v_sub_co_ci_u32_e32 v4, vcc_lo, v6, v4, vcc_lo
	s_and_b32 vcc_lo, exec_lo, s2
	s_wait_kmcnt 0x0
	v_mul_lo_u32 v6, s26, v4
	v_mul_lo_u32 v7, s27, v5
	v_mad_co_u64_u32 v[1:2], null, s26, v5, v[1:2]
	v_mul_lo_u32 v4, s24, v4
	v_mul_lo_u32 v8, s25, v5
	v_mad_co_u64_u32 v[24:25], null, s24, v5, v[24:25]
	s_delay_alu instid0(VALU_DEP_4) | instskip(NEXT) | instid1(VALU_DEP_2)
	v_add3_u32 v2, v7, v2, v6
	v_add3_u32 v25, v8, v25, v4
	s_wait_alu 0xfffe
	s_cbranch_vccnz .LBB0_9
; %bb.7:                                ;   in Loop: Header=BB0_2 Depth=1
	v_dual_mov_b32 v5, v30 :: v_dual_mov_b32 v6, v31
	s_branch .LBB0_2
.LBB0_8:
	v_dual_mov_b32 v25, v2 :: v_dual_mov_b32 v24, v1
	v_dual_mov_b32 v31, v6 :: v_dual_mov_b32 v30, v5
.LBB0_9:
	s_load_b64 s[0:1], s[0:1], 0x28
	v_mul_hi_u32 v3, 0x25ed098, v0
	s_lshl_b64 s[10:11], s[10:11], 3
                                        ; implicit-def: $vgpr26
                                        ; implicit-def: $vgpr28
                                        ; implicit-def: $vgpr35
                                        ; implicit-def: $vgpr34
                                        ; implicit-def: $vgpr33
                                        ; implicit-def: $vgpr32
	s_wait_kmcnt 0x0
	v_cmp_gt_u64_e32 vcc_lo, s[0:1], v[30:31]
	v_cmp_le_u64_e64 s0, s[0:1], v[30:31]
	s_delay_alu instid0(VALU_DEP_1)
	s_and_saveexec_b32 s1, s0
	s_wait_alu 0xfffe
	s_xor_b32 s0, exec_lo, s1
; %bb.10:
	v_mul_u32_u24_e32 v1, 0x6c, v3
                                        ; implicit-def: $vgpr3
	s_delay_alu instid0(VALU_DEP_1) | instskip(NEXT) | instid1(VALU_DEP_1)
	v_sub_nc_u32_e32 v26, v0, v1
                                        ; implicit-def: $vgpr0
                                        ; implicit-def: $vgpr1_vgpr2
	v_add_nc_u32_e32 v28, 0x6c, v26
	v_add_nc_u32_e32 v35, 0xd8, v26
	v_add_nc_u32_e32 v34, 0x144, v26
	v_add_nc_u32_e32 v33, 0x1b0, v26
	v_add_nc_u32_e32 v32, 0x21c, v26
; %bb.11:
	s_wait_alu 0xfffe
	s_or_saveexec_b32 s1, s0
	s_add_nc_u64 s[2:3], s[14:15], s[10:11]
	s_wait_alu 0xfffe
	s_xor_b32 exec_lo, exec_lo, s1
	s_cbranch_execz .LBB0_13
; %bb.12:
	s_add_nc_u64 s[10:11], s[12:13], s[10:11]
	v_lshlrev_b64_e32 v[1:2], 3, v[1:2]
	s_load_b64 s[10:11], s[10:11], 0x0
	s_wait_kmcnt 0x0
	v_mul_lo_u32 v6, s11, v30
	v_mul_lo_u32 v7, s10, v31
	v_mad_co_u64_u32 v[4:5], null, s10, v30, 0
	s_delay_alu instid0(VALU_DEP_1) | instskip(SKIP_1) | instid1(VALU_DEP_2)
	v_add3_u32 v5, v5, v7, v6
	v_mul_u32_u24_e32 v6, 0x6c, v3
	v_lshlrev_b64_e32 v[3:4], 3, v[4:5]
	s_delay_alu instid0(VALU_DEP_2) | instskip(NEXT) | instid1(VALU_DEP_1)
	v_sub_nc_u32_e32 v26, v0, v6
	v_lshlrev_b32_e32 v27, 3, v26
	s_delay_alu instid0(VALU_DEP_3) | instskip(SKIP_1) | instid1(VALU_DEP_4)
	v_add_co_u32 v0, s0, s4, v3
	s_wait_alu 0xf1ff
	v_add_co_ci_u32_e64 v3, s0, s5, v4, s0
	v_add_nc_u32_e32 v28, 0x6c, v26
	s_delay_alu instid0(VALU_DEP_3) | instskip(SKIP_1) | instid1(VALU_DEP_3)
	v_add_co_u32 v0, s0, v0, v1
	s_wait_alu 0xf1ff
	v_add_co_ci_u32_e64 v1, s0, v3, v2, s0
	v_add_nc_u32_e32 v35, 0xd8, v26
	s_delay_alu instid0(VALU_DEP_3) | instskip(SKIP_1) | instid1(VALU_DEP_3)
	v_add_co_u32 v0, s0, v0, v27
	s_wait_alu 0xf1ff
	v_add_co_ci_u32_e64 v1, s0, 0, v1, s0
	s_clause 0xf
	global_load_b64 v[2:3], v[0:1], off
	global_load_b64 v[4:5], v[0:1], off offset:864
	global_load_b64 v[6:7], v[0:1], off offset:1728
	;; [unrolled: 1-line block ×15, first 2 shown]
	v_add_nc_u32_e32 v27, 0, v27
	v_add_nc_u32_e32 v34, 0x144, v26
	;; [unrolled: 1-line block ×4, first 2 shown]
	s_delay_alu instid0(VALU_DEP_4)
	v_add_nc_u32_e32 v29, 0x400, v27
	v_add_nc_u32_e32 v44, 0xc00, v27
	;; [unrolled: 1-line block ×7, first 2 shown]
	s_wait_loadcnt 0xe
	ds_store_2addr_b64 v27, v[2:3], v[4:5] offset1:108
	s_wait_loadcnt 0xc
	ds_store_2addr_b64 v29, v[6:7], v[8:9] offset0:88 offset1:196
	s_wait_loadcnt 0xa
	ds_store_2addr_b64 v44, v[10:11], v[12:13] offset0:48 offset1:156
	s_wait_loadcnt 0x8
	ds_store_2addr_b64 v45, v[14:15], v[16:17] offset0:136 offset1:244
	s_wait_loadcnt 0x6
	ds_store_2addr_b64 v46, v[18:19], v[20:21] offset0:96 offset1:204
	s_wait_loadcnt 0x4
	ds_store_2addr_b64 v47, v[22:23], v[36:37] offset0:56 offset1:164
	s_wait_loadcnt 0x2
	ds_store_2addr_b64 v48, v[38:39], v[40:41] offset0:16 offset1:124
	s_wait_loadcnt 0x0
	ds_store_2addr_b64 v49, v[42:43], v[0:1] offset0:104 offset1:212
.LBB0_13:
	s_or_b32 exec_lo, exec_lo, s1
	v_lshl_add_u32 v48, v26, 3, 0
	s_load_b64 s[2:3], s[2:3], 0x0
	global_wb scope:SCOPE_SE
	s_wait_dscnt 0x0
	s_wait_kmcnt 0x0
	s_barrier_signal -1
	s_barrier_wait -1
	v_add_nc_u32_e32 v4, 0x1000, v48
	v_add_nc_u32_e32 v5, 0x2000, v48
	global_inv scope:SCOPE_SE
	s_mov_b32 s1, exec_lo
	ds_load_2addr_b64 v[7:10], v48 offset1:108
	ds_load_2addr_b64 v[11:14], v4 offset0:64 offset1:172
	ds_load_2addr_b64 v[15:18], v5 offset0:128 offset1:236
	v_add_nc_u32_e32 v0, 0x400, v48
	v_add_nc_u32_e32 v6, 0x1800, v48
	;; [unrolled: 1-line block ×5, first 2 shown]
	s_wait_dscnt 0x1
	v_add_f32_e32 v55, v9, v13
	s_wait_dscnt 0x0
	v_dual_add_f32 v56, v13, v17 :: v_dual_add_f32 v57, v14, v18
	v_add_nc_u32_e32 v27, 0x3000, v48
	ds_load_2addr_b64 v[19:22], v0 offset0:88 offset1:196
	ds_load_2addr_b64 v[36:39], v6 offset0:24 offset1:132
	;; [unrolled: 1-line block ×6, first 2 shown]
	v_add_f32_e32 v23, v7, v11
	v_add_f32_e32 v27, v11, v15
	v_dual_sub_f32 v54, v11, v15 :: v_dual_sub_f32 v29, v12, v16
	v_add_f32_e32 v53, v8, v12
	s_delay_alu instid0(VALU_DEP_4) | instskip(NEXT) | instid1(VALU_DEP_4)
	v_dual_add_f32 v12, v12, v16 :: v_dual_add_f32 v11, v23, v15
	v_fma_f32 v7, -0.5, v27, v7
	v_sub_f32_e32 v23, v14, v18
	v_add_f32_e32 v14, v10, v14
	s_delay_alu instid0(VALU_DEP_4) | instskip(SKIP_3) | instid1(VALU_DEP_4)
	v_fma_f32 v8, -0.5, v12, v8
	v_add_f32_e32 v12, v53, v16
	v_fma_f32 v9, -0.5, v56, v9
	v_fmac_f32_e32 v10, -0.5, v57
	v_dual_add_f32 v53, v55, v17 :: v_dual_fmamk_f32 v16, v54, 0xbf5db3d7, v8
	v_dual_fmamk_f32 v15, v29, 0x3f5db3d7, v7 :: v_dual_fmac_f32 v8, 0x3f5db3d7, v54
	v_dual_add_f32 v54, v14, v18 :: v_dual_sub_f32 v17, v13, v17
	s_wait_dscnt 0x3
	v_dual_add_f32 v18, v36, v40 :: v_dual_add_f32 v27, v37, v41
	v_fmamk_f32 v13, v23, 0x3f5db3d7, v9
	s_delay_alu instid0(VALU_DEP_3) | instskip(SKIP_1) | instid1(VALU_DEP_4)
	v_dual_fmac_f32 v7, 0xbf5db3d7, v29 :: v_dual_fmamk_f32 v14, v17, 0xbf5db3d7, v10
	v_fmac_f32_e32 v10, 0x3f5db3d7, v17
	v_fma_f32 v17, -0.5, v18, v19
	v_fma_f32 v18, -0.5, v27, v20
	v_sub_f32_e32 v27, v36, v40
	v_fmac_f32_e32 v9, 0xbf5db3d7, v23
	v_add_f32_e32 v23, v19, v36
	global_wb scope:SCOPE_SE
	s_wait_dscnt 0x0
	s_barrier_signal -1
	v_fmamk_f32 v56, v27, 0xbf5db3d7, v18
	v_fmac_f32_e32 v18, 0x3f5db3d7, v27
	v_add_f32_e32 v27, v39, v43
	v_sub_f32_e32 v29, v37, v41
	s_barrier_wait -1
	global_inv scope:SCOPE_SE
	v_fmamk_f32 v55, v29, 0x3f5db3d7, v17
	v_fmac_f32_e32 v17, 0xbf5db3d7, v29
	v_add_f32_e32 v29, v21, v38
	s_delay_alu instid0(VALU_DEP_1) | instskip(SKIP_3) | instid1(VALU_DEP_3)
	v_add_f32_e32 v57, v29, v42
	v_add_f32_e32 v29, v22, v39
	v_dual_add_f32 v19, v23, v40 :: v_dual_fmac_f32 v22, -0.5, v27
	v_sub_f32_e32 v27, v38, v42
	v_dual_add_f32 v23, v20, v37 :: v_dual_add_f32 v58, v29, v43
	s_delay_alu instid0(VALU_DEP_1) | instskip(SKIP_1) | instid1(VALU_DEP_1)
	v_dual_add_f32 v29, v0, v44 :: v_dual_add_f32 v20, v23, v41
	v_dual_add_f32 v23, v38, v42 :: v_dual_add_f32 v42, v3, v47
	v_fma_f32 v21, -0.5, v23, v21
	v_sub_f32_e32 v23, v39, v43
	v_fmamk_f32 v39, v27, 0xbf5db3d7, v22
	v_dual_fmac_f32 v22, 0x3f5db3d7, v27 :: v_dual_add_f32 v27, v45, v50
	s_delay_alu instid0(VALU_DEP_3) | instskip(SKIP_2) | instid1(VALU_DEP_4)
	v_fmamk_f32 v38, v23, 0x3f5db3d7, v21
	v_fmac_f32_e32 v21, 0xbf5db3d7, v23
	v_add_f32_e32 v23, v44, v49
	v_fma_f32 v37, -0.5, v27, v1
	v_sub_f32_e32 v27, v44, v49
	s_delay_alu instid0(VALU_DEP_3) | instskip(SKIP_4) | instid1(VALU_DEP_4)
	v_fma_f32 v36, -0.5, v23, v0
	v_sub_f32_e32 v23, v45, v50
	v_add_f32_e32 v0, v29, v49
	v_add_f32_e32 v29, v1, v45
	v_fmamk_f32 v41, v27, 0xbf5db3d7, v37
	v_dual_fmac_f32 v37, 0x3f5db3d7, v27 :: v_dual_fmamk_f32 v40, v23, 0x3f5db3d7, v36
	v_fmac_f32_e32 v36, 0xbf5db3d7, v23
	v_add_f32_e32 v23, v46, v51
	v_add_f32_e32 v27, v47, v52
	;; [unrolled: 1-line block ×5, first 2 shown]
	v_fma_f32 v2, -0.5, v23, v2
	v_sub_f32_e32 v23, v47, v52
	v_fmac_f32_e32 v3, -0.5, v27
	v_sub_f32_e32 v27, v46, v51
	v_add_f32_e32 v44, v29, v51
	v_mad_i32_i24 v29, v28, 24, 0
	v_fmamk_f32 v46, v23, 0x3f5db3d7, v2
	v_fmac_f32_e32 v2, 0xbf5db3d7, v23
	v_lshl_add_u32 v23, v26, 4, v48
	v_fmamk_f32 v47, v27, 0xbf5db3d7, v3
	v_fmac_f32_e32 v3, 0x3f5db3d7, v27
	v_mad_i32_i24 v27, v35, 24, 0
	ds_store_2addr_b64 v23, v[11:12], v[15:16] offset1:1
	ds_store_b64 v23, v[7:8] offset:16
	v_mad_i32_i24 v7, v34, 24, 0
	v_mad_i32_i24 v8, v33, 24, 0
	ds_store_2addr_b64 v29, v[53:54], v[13:14] offset1:1
	ds_store_b64 v29, v[9:10] offset:16
	ds_store_2addr_b64 v27, v[19:20], v[55:56] offset1:1
	ds_store_b64 v27, v[17:18] offset:16
	;; [unrolled: 2-line block ×4, first 2 shown]
	v_cmpx_gt_u32_e32 36, v26
	s_cbranch_execz .LBB0_15
; %bb.14:
	v_mad_i32_i24 v7, v32, 24, 0
	ds_store_2addr_b64 v7, v[44:45], v[46:47] offset1:1
	ds_store_b64 v7, v[2:3] offset:16
.LBB0_15:
	s_wait_alu 0xfffe
	s_or_b32 exec_lo, exec_lo, s1
	v_add_nc_u32_e32 v7, 0x800, v48
	v_lshlrev_b32_e32 v53, 4, v28
	global_wb scope:SCOPE_SE
	s_wait_dscnt 0x0
	s_barrier_signal -1
	s_barrier_wait -1
	global_inv scope:SCOPE_SE
	ds_load_2addr_b64 v[20:23], v7 offset0:32 offset1:140
	v_add_nc_u32_e32 v7, 0x2c00, v48
	v_sub_nc_u32_e32 v38, v29, v53
	ds_load_2addr_b64 v[16:19], v4 offset0:64 offset1:172
	ds_load_2addr_b64 v[12:15], v6 offset0:96 offset1:204
	;; [unrolled: 1-line block ×4, first 2 shown]
	ds_load_b64 v[42:43], v48
	ds_load_b64 v[38:39], v38
	v_cmp_gt_u32_e64 s0, 0x48, v26
	s_delay_alu instid0(VALU_DEP_1)
	s_and_saveexec_b32 s1, s0
	s_cbranch_execz .LBB0_17
; %bb.16:
	v_lshlrev_b32_e32 v0, 4, v35
	s_delay_alu instid0(VALU_DEP_1)
	v_sub_nc_u32_e32 v0, v27, v0
	ds_load_b64 v[40:41], v48 offset:4032
	ds_load_b64 v[36:37], v48 offset:6336
	;; [unrolled: 1-line block ×4, first 2 shown]
	ds_load_b64 v[0:1], v0
	ds_load_b64 v[2:3], v48 offset:13248
.LBB0_17:
	s_wait_alu 0xfffe
	s_or_b32 exec_lo, exec_lo, s1
	v_and_b32_e32 v51, 0xff, v26
	v_and_b32_e32 v52, 0xff, v28
	v_sub_nc_u32_e32 v53, 0, v53
	s_delay_alu instid0(VALU_DEP_3) | instskip(NEXT) | instid1(VALU_DEP_1)
	v_mul_lo_u16 v27, 0xab, v51
	v_lshrrev_b16 v84, 9, v27
	s_delay_alu instid0(VALU_DEP_4) | instskip(NEXT) | instid1(VALU_DEP_2)
	v_mul_lo_u16 v27, 0xab, v52
	v_mul_lo_u16 v49, v84, 3
	s_delay_alu instid0(VALU_DEP_2) | instskip(NEXT) | instid1(VALU_DEP_2)
	v_lshrrev_b16 v85, 9, v27
	v_sub_nc_u16 v27, v26, v49
	s_delay_alu instid0(VALU_DEP_2) | instskip(NEXT) | instid1(VALU_DEP_2)
	v_mul_lo_u16 v49, v85, 3
	v_and_b32_e32 v86, 0xff, v27
	v_and_b32_e32 v27, 0xffff, v35
	s_delay_alu instid0(VALU_DEP_3) | instskip(NEXT) | instid1(VALU_DEP_3)
	v_sub_nc_u16 v49, v28, v49
	v_mul_u32_u24_e32 v50, 5, v86
	s_delay_alu instid0(VALU_DEP_3) | instskip(NEXT) | instid1(VALU_DEP_3)
	v_mul_u32_u24_e32 v54, 0xaaab, v27
	v_and_b32_e32 v87, 0xff, v49
	s_delay_alu instid0(VALU_DEP_3) | instskip(NEXT) | instid1(VALU_DEP_3)
	v_lshlrev_b32_e32 v50, 3, v50
	v_lshrrev_b32_e32 v49, 17, v54
	s_delay_alu instid0(VALU_DEP_3)
	v_mul_u32_u24_e32 v62, 5, v87
	s_clause 0x1
	global_load_b128 v[54:57], v50, s[8:9]
	global_load_b128 v[58:61], v50, s[8:9] offset:16
	v_mul_lo_u16 v63, v49, 3
	v_lshlrev_b32_e32 v70, 3, v62
	v_lshlrev_b32_e32 v86, 3, v86
	s_delay_alu instid0(VALU_DEP_3)
	v_sub_nc_u16 v66, v35, v63
	s_wait_loadcnt_dscnt 0x4
	v_mul_f32_e32 v88, v59, v13
	v_mul_f32_e32 v59, v59, v12
	s_clause 0x1
	global_load_b64 v[78:79], v50, s[8:9] offset:32
	global_load_b128 v[62:65], v70, s[8:9]
	s_wait_dscnt 0x3
	v_dual_mul_f32 v89, v61, v9 :: v_dual_and_b32 v50, 0xffff, v66
	global_load_b128 v[66:69], v70, s[8:9] offset:16
	v_and_b32_e32 v84, 0xffff, v84
	v_and_b32_e32 v85, 0xffff, v85
	v_mul_u32_u24_e32 v71, 5, v50
	v_mul_f32_e32 v61, v61, v8
	v_fma_f32 v8, v60, v8, -v89
	v_fma_f32 v12, v58, v12, -v88
	s_delay_alu instid0(VALU_DEP_4)
	v_lshlrev_b32_e32 v82, 3, v71
	s_clause 0x3
	global_load_b64 v[80:81], v70, s[8:9] offset:32
	global_load_b128 v[70:73], v82, s[8:9]
	global_load_b128 v[74:77], v82, s[8:9] offset:16
	global_load_b64 v[82:83], v82, s[8:9] offset:32
	v_fmac_f32_e32 v61, v60, v9
	global_wb scope:SCOPE_SE
	s_wait_loadcnt_dscnt 0x0
	s_barrier_signal -1
	s_barrier_wait -1
	global_inv scope:SCOPE_SE
	v_mul_f32_e32 v90, v79, v5
	v_mul_f32_e32 v91, v63, v23
	v_mul_u32_u24_e32 v84, 0x90, v84
	s_delay_alu instid0(VALU_DEP_1) | instskip(SKIP_2) | instid1(VALU_DEP_2)
	v_add3_u32 v84, 0, v84, v86
	v_mul_f32_e32 v86, v55, v21
	v_mul_f32_e32 v55, v55, v20
	v_fma_f32 v86, v54, v20, -v86
	s_delay_alu instid0(VALU_DEP_2)
	v_dual_fmac_f32 v55, v54, v21 :: v_dual_mul_f32 v20, v79, v4
	v_dual_mul_f32 v54, v65, v18 :: v_dual_lshlrev_b32 v87, 3, v87
	v_mul_u32_u24_e32 v85, 0x90, v85
	v_mul_f32_e32 v21, v65, v19
	v_mul_f32_e32 v60, v2, v83
	v_dual_mul_f32 v65, v40, v71 :: v_dual_fmac_f32 v20, v78, v5
	s_delay_alu instid0(VALU_DEP_4) | instskip(SKIP_4) | instid1(VALU_DEP_4)
	v_add3_u32 v85, 0, v85, v87
	v_mul_f32_e32 v87, v57, v17
	v_dual_mul_f32 v57, v57, v16 :: v_dual_fmac_f32 v54, v64, v19
	v_mul_f32_e32 v19, v7, v81
	v_fma_f32 v4, v78, v4, -v90
	v_fma_f32 v16, v56, v16, -v87
	s_delay_alu instid0(VALU_DEP_4) | instskip(SKIP_4) | instid1(VALU_DEP_4)
	v_fmac_f32_e32 v57, v56, v17
	v_mul_f32_e32 v17, v63, v22
	v_fma_f32 v56, v62, v22, -v91
	v_dual_mul_f32 v22, v67, v15 :: v_dual_mul_f32 v63, v10, v69
	v_fmac_f32_e32 v59, v58, v13
	v_dual_fmac_f32 v17, v62, v23 :: v_dual_fmac_f32 v60, v3, v82
	v_mul_f32_e32 v62, v11, v69
	v_mul_f32_e32 v23, v67, v14
	v_fma_f32 v18, v64, v18, -v21
	v_dual_mul_f32 v64, v41, v71 :: v_dual_mul_f32 v21, v6, v81
	v_mul_f32_e32 v67, v37, v73
	v_mul_f32_e32 v69, v36, v73
	v_mul_f32_e32 v71, v45, v75
	v_dual_mul_f32 v13, v46, v77 :: v_dual_mul_f32 v58, v3, v83
	v_fma_f32 v5, v66, v14, -v22
	v_fma_f32 v10, v10, v68, -v62
	v_fmac_f32_e32 v63, v11, v68
	v_mul_f32_e32 v9, v47, v77
	v_fma_f32 v6, v6, v80, -v19
	v_fmac_f32_e32 v23, v66, v15
	v_fma_f32 v11, v40, v70, -v64
	v_fma_f32 v2, v2, v82, -v58
	;; [unrolled: 1-line block ×3, first 2 shown]
	v_dual_add_f32 v62, v5, v6 :: v_dual_add_f32 v15, v16, v8
	v_add_f32_e32 v22, v43, v57
	v_fma_f32 v14, v44, v74, -v71
	v_add_f32_e32 v40, v12, v4
	v_dual_add_f32 v46, v38, v18 :: v_dual_mul_f32 v73, v44, v75
	v_add_f32_e32 v44, v55, v59
	v_add_f32_e32 v58, v39, v54
	v_fmac_f32_e32 v13, v47, v76
	v_add_f32_e32 v3, v42, v16
	v_sub_f32_e32 v16, v16, v8
	v_dual_fmac_f32 v21, v7, v80 :: v_dual_add_f32 v66, v17, v23
	v_fma_f32 v7, v36, v72, -v67
	v_fmac_f32_e32 v69, v37, v72
	s_delay_alu instid0(VALU_DEP_3) | instskip(SKIP_1) | instid1(VALU_DEP_4)
	v_dual_fmac_f32 v65, v41, v70 :: v_dual_sub_f32 v64, v23, v21
	v_add_f32_e32 v36, v57, v61
	v_dual_fmac_f32 v73, v45, v74 :: v_dual_sub_f32 v72, v7, v9
	v_add_f32_e32 v37, v86, v12
	v_sub_f32_e32 v12, v12, v4
	v_dual_sub_f32 v41, v59, v20 :: v_dual_add_f32 v22, v22, v61
	v_add_f32_e32 v45, v59, v20
	v_dual_add_f32 v59, v56, v5 :: v_dual_fmac_f32 v86, -0.5, v40
	v_add_f32_e32 v68, v7, v9
	v_add_f32_e32 v74, v14, v2
	v_dual_sub_f32 v70, v69, v13 :: v_dual_add_f32 v47, v18, v10
	v_dual_add_f32 v8, v3, v8 :: v_dual_sub_f32 v19, v57, v61
	v_dual_sub_f32 v18, v18, v10 :: v_dual_add_f32 v23, v23, v21
	v_dual_add_f32 v20, v44, v20 :: v_dual_sub_f32 v67, v5, v6
	v_dual_add_f32 v5, v0, v7 :: v_dual_fmac_f32 v56, -0.5, v62
	v_dual_add_f32 v7, v11, v14 :: v_dual_add_f32 v76, v65, v73
	v_sub_f32_e32 v14, v14, v2
	v_fma_f32 v15, -0.5, v15, v42
	v_sub_f32_e32 v75, v73, v60
	v_add_f32_e32 v73, v73, v60
	v_fmac_f32_e32 v43, -0.5, v36
	v_fma_f32 v36, -0.5, v47, v38
	v_dual_add_f32 v38, v59, v6 :: v_dual_sub_f32 v57, v54, v63
	v_add_f32_e32 v4, v37, v4
	v_add_f32_e32 v54, v54, v63
	v_dual_add_f32 v10, v46, v10 :: v_dual_fmac_f32 v55, -0.5, v45
	v_add_f32_e32 v37, v58, v63
	v_add_f32_e32 v21, v66, v21
	s_delay_alu instid0(VALU_DEP_4)
	v_fmac_f32_e32 v39, -0.5, v54
	v_dual_fmac_f32 v17, -0.5, v23 :: v_dual_fmac_f32 v0, -0.5, v68
	v_fmamk_f32 v44, v19, 0x3f5db3d7, v15
	v_fmac_f32_e32 v15, 0xbf5db3d7, v19
	v_fmamk_f32 v46, v57, 0x3f5db3d7, v36
	v_fmamk_f32 v19, v16, 0xbf5db3d7, v43
	v_dual_fmac_f32 v43, 0x3f5db3d7, v16 :: v_dual_fmamk_f32 v16, v41, 0x3f5db3d7, v86
	v_fmac_f32_e32 v86, 0xbf5db3d7, v41
	v_fmac_f32_e32 v65, -0.5, v73
	v_dual_add_f32 v71, v1, v69 :: v_dual_add_f32 v40, v7, v2
	v_add_f32_e32 v2, v8, v4
	v_fmamk_f32 v41, v12, 0xbf5db3d7, v55
	v_fmac_f32_e32 v55, 0x3f5db3d7, v12
	v_sub_f32_e32 v4, v8, v4
	v_dual_fmac_f32 v36, 0xbf5db3d7, v57 :: v_dual_fmamk_f32 v47, v18, 0xbf5db3d7, v39
	v_fmamk_f32 v12, v64, 0x3f5db3d7, v56
	v_dual_fmac_f32 v56, 0xbf5db3d7, v64 :: v_dual_add_f32 v23, v5, v9
	v_add_f32_e32 v7, v37, v21
	v_sub_f32_e32 v9, v37, v21
	v_fmamk_f32 v57, v70, 0x3f5db3d7, v0
	v_dual_fmac_f32 v0, 0xbf5db3d7, v70 :: v_dual_fmamk_f32 v37, v14, 0xbf5db3d7, v65
	v_fmac_f32_e32 v39, 0x3f5db3d7, v18
	v_dual_fmamk_f32 v18, v67, 0xbf5db3d7, v17 :: v_dual_add_f32 v69, v69, v13
	v_dual_add_f32 v42, v76, v60 :: v_dual_fmac_f32 v11, -0.5, v74
	v_dual_add_f32 v13, v71, v13 :: v_dual_add_f32 v6, v10, v38
	s_delay_alu instid0(VALU_DEP_3) | instskip(SKIP_3) | instid1(VALU_DEP_4)
	v_dual_mul_f32 v54, 0x3f5db3d7, v18 :: v_dual_fmac_f32 v1, -0.5, v69
	v_sub_f32_e32 v8, v10, v38
	v_add_f32_e32 v3, v22, v20
	v_sub_f32_e32 v5, v22, v20
	v_dual_fmac_f32 v65, 0x3f5db3d7, v14 :: v_dual_fmac_f32 v54, 0.5, v12
	v_dual_fmac_f32 v17, 0x3f5db3d7, v67 :: v_dual_add_f32 v20, v23, v40
	v_fmamk_f32 v10, v75, 0x3f5db3d7, v11
	s_delay_alu instid0(VALU_DEP_3)
	v_mul_f32_e32 v66, -0.5, v65
	v_sub_f32_e32 v22, v23, v40
	v_mul_f32_e32 v40, 0xbf5db3d7, v16
	v_mul_f32_e32 v14, 0x3f5db3d7, v41
	v_dual_fmac_f32 v11, 0xbf5db3d7, v75 :: v_dual_mul_f32 v38, -0.5, v86
	v_dual_mul_f32 v60, 0xbf5db3d7, v12 :: v_dual_mul_f32 v61, -0.5, v17
	v_mul_f32_e32 v64, 0xbf5db3d7, v10
	s_delay_alu instid0(VALU_DEP_4) | instskip(NEXT) | instid1(VALU_DEP_4)
	v_dual_fmac_f32 v14, 0.5, v16 :: v_dual_sub_f32 v23, v13, v42
	v_fmac_f32_e32 v66, 0xbf5db3d7, v11
	v_dual_fmac_f32 v40, 0.5, v41 :: v_dual_add_f32 v21, v13, v42
	s_delay_alu instid0(VALU_DEP_4) | instskip(SKIP_4) | instid1(VALU_DEP_4)
	v_fmac_f32_e32 v64, 0.5, v37
	v_dual_mul_f32 v42, -0.5, v55 :: v_dual_mul_f32 v59, -0.5, v56
	v_dual_mul_f32 v62, 0x3f5db3d7, v37 :: v_dual_mul_f32 v63, -0.5, v11
	v_fmamk_f32 v58, v72, 0xbf5db3d7, v1
	v_dual_fmac_f32 v1, 0x3f5db3d7, v72 :: v_dual_fmac_f32 v38, 0x3f5db3d7, v55
	v_fmac_f32_e32 v42, 0xbf5db3d7, v86
	v_dual_fmac_f32 v59, 0x3f5db3d7, v17 :: v_dual_fmac_f32 v60, 0.5, v18
	v_dual_fmac_f32 v61, 0xbf5db3d7, v56 :: v_dual_fmac_f32 v62, 0.5, v10
	s_delay_alu instid0(VALU_DEP_4)
	v_dual_fmac_f32 v63, 0x3f5db3d7, v65 :: v_dual_sub_f32 v16, v15, v38
	v_add_f32_e32 v10, v44, v14
	v_add_f32_e32 v12, v15, v38
	v_dual_add_f32 v11, v19, v40 :: v_dual_add_f32 v18, v46, v54
	v_add_f32_e32 v13, v43, v42
	v_sub_f32_e32 v14, v44, v14
	v_dual_add_f32 v44, v36, v59 :: v_dual_sub_f32 v15, v19, v40
	v_sub_f32_e32 v46, v46, v54
	v_dual_sub_f32 v17, v43, v42 :: v_dual_sub_f32 v54, v36, v59
	v_dual_add_f32 v19, v47, v60 :: v_dual_add_f32 v36, v57, v62
	v_dual_add_f32 v45, v39, v61 :: v_dual_add_f32 v38, v0, v63
	v_dual_sub_f32 v47, v47, v60 :: v_dual_sub_f32 v42, v57, v62
	v_dual_sub_f32 v55, v39, v61 :: v_dual_sub_f32 v40, v0, v63
	v_add_f32_e32 v37, v58, v64
	v_add_f32_e32 v39, v1, v66
	v_sub_f32_e32 v43, v58, v64
	v_sub_f32_e32 v41, v1, v66
	ds_store_2addr_b64 v84, v[2:3], v[10:11] offset1:3
	ds_store_2addr_b64 v84, v[12:13], v[4:5] offset0:6 offset1:9
	ds_store_2addr_b64 v84, v[14:15], v[16:17] offset0:12 offset1:15
	ds_store_2addr_b64 v85, v[6:7], v[18:19] offset1:3
	ds_store_2addr_b64 v85, v[44:45], v[8:9] offset0:6 offset1:9
	ds_store_2addr_b64 v85, v[46:47], v[54:55] offset0:12 offset1:15
	s_and_saveexec_b32 s1, s0
	s_cbranch_execz .LBB0_19
; %bb.18:
	v_mul_lo_u16 v0, v49, 18
	v_lshlrev_b32_e32 v1, 3, v50
	s_delay_alu instid0(VALU_DEP_2) | instskip(NEXT) | instid1(VALU_DEP_1)
	v_and_b32_e32 v0, 0xffff, v0
	v_lshlrev_b32_e32 v0, 3, v0
	s_delay_alu instid0(VALU_DEP_1)
	v_add3_u32 v0, 0, v1, v0
	ds_store_2addr_b64 v0, v[20:21], v[36:37] offset1:3
	ds_store_2addr_b64 v0, v[38:39], v[22:23] offset0:6 offset1:9
	ds_store_2addr_b64 v0, v[42:43], v[40:41] offset0:12 offset1:15
.LBB0_19:
	s_wait_alu 0xfffe
	s_or_b32 exec_lo, exec_lo, s1
	v_add_nc_u32_e32 v0, 0x800, v48
	v_add_nc_u32_e32 v4, 0x1000, v48
	;; [unrolled: 1-line block ×6, first 2 shown]
	global_wb scope:SCOPE_SE
	s_wait_dscnt 0x0
	s_barrier_signal -1
	s_barrier_wait -1
	global_inv scope:SCOPE_SE
	ds_load_2addr_b64 v[0:3], v0 offset0:32 offset1:140
	ds_load_2addr_b64 v[4:7], v4 offset0:64 offset1:172
	;; [unrolled: 1-line block ×5, first 2 shown]
	ds_load_b64 v[46:47], v48
	ds_load_b64 v[44:45], v50
	v_lshl_add_u32 v49, v35, 3, 0
	s_and_saveexec_b32 s1, s0
	s_cbranch_execz .LBB0_21
; %bb.20:
	ds_load_b64 v[36:37], v48 offset:4032
	ds_load_b64 v[38:39], v48 offset:6336
	;; [unrolled: 1-line block ×4, first 2 shown]
	ds_load_b64 v[20:21], v49
	ds_load_b64 v[40:41], v48 offset:13248
.LBB0_21:
	s_wait_alu 0xfffe
	s_or_b32 exec_lo, exec_lo, s1
	v_mul_lo_u16 v29, v51, 57
	v_mul_lo_u16 v51, v52, 57
	s_delay_alu instid0(VALU_DEP_2) | instskip(NEXT) | instid1(VALU_DEP_2)
	v_lshrrev_b16 v29, 10, v29
	v_lshrrev_b16 v71, 10, v51
	s_delay_alu instid0(VALU_DEP_2) | instskip(NEXT) | instid1(VALU_DEP_1)
	v_mul_lo_u16 v52, v29, 18
	v_sub_nc_u16 v51, v26, v52
	s_delay_alu instid0(VALU_DEP_3) | instskip(NEXT) | instid1(VALU_DEP_2)
	v_mul_lo_u16 v52, v71, 18
	v_and_b32_e32 v72, 0xff, v51
	s_delay_alu instid0(VALU_DEP_2) | instskip(NEXT) | instid1(VALU_DEP_2)
	v_sub_nc_u16 v51, v28, v52
	v_mul_u32_u24_e32 v52, 5, v72
	s_delay_alu instid0(VALU_DEP_2) | instskip(NEXT) | instid1(VALU_DEP_2)
	v_and_b32_e32 v73, 0xff, v51
	v_lshlrev_b32_e32 v59, 3, v52
	s_delay_alu instid0(VALU_DEP_2)
	v_mul_u32_u24_e32 v60, 5, v73
	s_clause 0x1
	global_load_b128 v[51:54], v59, s[8:9] offset:120
	global_load_b128 v[55:58], v59, s[8:9] offset:136
	v_lshlrev_b32_e32 v69, 3, v60
	v_and_b32_e32 v71, 0xffff, v71
	v_and_b32_e32 v29, 0xffff, v29
	v_lshlrev_b32_e32 v73, 3, v73
	s_delay_alu instid0(VALU_DEP_3) | instskip(NEXT) | instid1(VALU_DEP_3)
	v_mul_u32_u24_e32 v71, 0x360, v71
	v_mul_u32_u24_e32 v29, 0x360, v29
	s_wait_loadcnt_dscnt 0x4
	v_mul_f32_e32 v74, v56, v17
	v_mul_f32_e32 v56, v56, v16
	s_clause 0x3
	global_load_b64 v[67:68], v59, s[8:9] offset:152
	global_load_b128 v[59:62], v69, s[8:9] offset:120
	global_load_b128 v[63:66], v69, s[8:9] offset:136
	global_load_b64 v[69:70], v69, s[8:9] offset:152
	v_add3_u32 v71, 0, v71, v73
	v_dual_mul_f32 v73, v54, v5 :: v_dual_lshlrev_b32 v72, 3, v72
	s_wait_dscnt 0x3
	v_mul_f32_e32 v75, v58, v13
	v_mul_f32_e32 v54, v54, v4
	;; [unrolled: 1-line block ×3, first 2 shown]
	global_wb scope:SCOPE_SE
	s_wait_loadcnt_dscnt 0x0
	v_add3_u32 v29, 0, v29, v72
	v_mul_f32_e32 v72, v52, v1
	v_mul_f32_e32 v52, v52, v0
	v_fmac_f32_e32 v54, v53, v5
	s_barrier_signal -1
	s_barrier_wait -1
	v_fma_f32 v72, v51, v0, -v72
	v_fma_f32 v0, v53, v4, -v73
	;; [unrolled: 1-line block ×3, first 2 shown]
	global_inv scope:SCOPE_SE
	v_mul_f32_e32 v76, v68, v9
	v_mul_f32_e32 v68, v68, v8
	;; [unrolled: 1-line block ×5, first 2 shown]
	v_dual_mul_f32 v79, v64, v19 :: v_dual_fmac_f32 v58, v57, v13
	v_fmac_f32_e32 v52, v51, v1
	v_fma_f32 v1, v55, v16, -v74
	v_fma_f32 v5, v67, v8, -v76
	v_mul_f32_e32 v78, v62, v7
	v_mul_f32_e32 v62, v62, v6
	v_fmac_f32_e32 v56, v55, v17
	v_mul_f32_e32 v80, v15, v66
	v_mul_f32_e32 v64, v64, v18
	v_fma_f32 v8, v59, v2, -v77
	v_fmac_f32_e32 v62, v61, v7
	v_fmac_f32_e32 v68, v67, v9
	v_fma_f32 v7, v10, v69, -v81
	v_dual_add_f32 v9, v46, v0 :: v_dual_fmac_f32 v60, v59, v3
	v_fma_f32 v3, v63, v18, -v79
	v_dual_mul_f32 v66, v14, v66 :: v_dual_add_f32 v17, v52, v56
	s_delay_alu instid0(VALU_DEP_2) | instskip(NEXT) | instid1(VALU_DEP_2)
	v_add_f32_e32 v57, v3, v7
	v_fmac_f32_e32 v66, v15, v65
	v_add_f32_e32 v15, v1, v5
	v_fma_f32 v2, v61, v6, -v78
	v_fma_f32 v6, v14, v65, -v80
	v_add_f32_e32 v14, v72, v1
	v_dual_sub_f32 v1, v1, v5 :: v_dual_fmac_f32 v64, v63, v19
	v_add_f32_e32 v55, v62, v66
	v_mul_f32_e32 v70, v10, v70
	v_dual_add_f32 v10, v0, v4 :: v_dual_sub_f32 v63, v3, v7
	v_add_f32_e32 v19, v44, v2
	v_add_f32_e32 v51, v2, v6
	v_add_f32_e32 v13, v54, v58
	v_dual_add_f32 v61, v60, v64 :: v_dual_fmac_f32 v70, v11, v69
	v_sub_f32_e32 v11, v54, v58
	s_delay_alu instid0(VALU_DEP_3) | instskip(SKIP_1) | instid1(VALU_DEP_4)
	v_dual_add_f32 v12, v47, v54 :: v_dual_fmac_f32 v47, -0.5, v13
	v_fma_f32 v46, -0.5, v10, v46
	v_sub_f32_e32 v59, v64, v70
	v_dual_sub_f32 v53, v62, v66 :: v_dual_sub_f32 v16, v56, v68
	v_fma_f32 v44, -0.5, v51, v44
	s_delay_alu instid0(VALU_DEP_4) | instskip(SKIP_4) | instid1(VALU_DEP_3)
	v_dual_fmamk_f32 v13, v11, 0x3f5db3d7, v46 :: v_dual_add_f32 v18, v56, v68
	v_sub_f32_e32 v56, v2, v6
	v_dual_add_f32 v2, v8, v3 :: v_dual_add_f32 v3, v9, v4
	v_dual_add_f32 v9, v17, v68 :: v_dual_fmac_f32 v72, -0.5, v15
	v_fmamk_f32 v51, v53, 0x3f5db3d7, v44
	v_dual_add_f32 v7, v2, v7 :: v_dual_sub_f32 v0, v0, v4
	v_dual_add_f32 v5, v14, v5 :: v_dual_add_f32 v54, v45, v62
	v_dual_fmac_f32 v45, -0.5, v55 :: v_dual_fmac_f32 v44, 0xbf5db3d7, v53
	s_delay_alu instid0(VALU_DEP_3) | instskip(NEXT) | instid1(VALU_DEP_3)
	v_fmamk_f32 v15, v0, 0xbf5db3d7, v47
	v_dual_fmac_f32 v47, 0x3f5db3d7, v0 :: v_dual_add_f32 v10, v54, v66
	s_delay_alu instid0(VALU_DEP_3)
	v_fmamk_f32 v53, v56, 0xbf5db3d7, v45
	v_add_f32_e32 v4, v12, v58
	v_add_f32_e32 v12, v61, v70
	;; [unrolled: 1-line block ×3, first 2 shown]
	v_sub_f32_e32 v2, v3, v5
	v_fmac_f32_e32 v46, 0xbf5db3d7, v11
	v_fmac_f32_e32 v45, 0x3f5db3d7, v56
	v_dual_add_f32 v5, v10, v12 :: v_dual_fmac_f32 v52, -0.5, v18
	s_delay_alu instid0(VALU_DEP_1) | instskip(SKIP_3) | instid1(VALU_DEP_2)
	v_dual_sub_f32 v3, v4, v9 :: v_dual_fmamk_f32 v14, v1, 0xbf5db3d7, v52
	v_fmac_f32_e32 v52, 0x3f5db3d7, v1
	v_dual_add_f32 v1, v4, v9 :: v_dual_add_f32 v6, v19, v6
	v_fmamk_f32 v11, v16, 0x3f5db3d7, v72
	v_dual_mul_f32 v19, -0.5, v52 :: v_dual_add_f32 v4, v6, v7
	s_delay_alu instid0(VALU_DEP_2) | instskip(SKIP_1) | instid1(VALU_DEP_2)
	v_mul_f32_e32 v18, 0xbf5db3d7, v11
	v_sub_f32_e32 v6, v6, v7
	v_fmac_f32_e32 v18, 0.5, v14
	v_fmac_f32_e32 v72, 0xbf5db3d7, v16
	s_delay_alu instid0(VALU_DEP_1) | instskip(SKIP_1) | instid1(VALU_DEP_2)
	v_dual_mul_f32 v17, -0.5, v72 :: v_dual_fmac_f32 v8, -0.5, v57
	v_dual_sub_f32 v7, v10, v12 :: v_dual_add_f32 v62, v64, v70
	v_fmamk_f32 v9, v59, 0x3f5db3d7, v8
	v_fmac_f32_e32 v8, 0xbf5db3d7, v59
	s_delay_alu instid0(VALU_DEP_3) | instskip(NEXT) | instid1(VALU_DEP_2)
	v_fmac_f32_e32 v60, -0.5, v62
	v_dual_mul_f32 v56, 0xbf5db3d7, v9 :: v_dual_mul_f32 v55, -0.5, v8
	s_delay_alu instid0(VALU_DEP_2) | instskip(SKIP_1) | instid1(VALU_DEP_2)
	v_fmamk_f32 v16, v63, 0xbf5db3d7, v60
	v_fmac_f32_e32 v60, 0x3f5db3d7, v63
	v_fmac_f32_e32 v56, 0.5, v16
	s_delay_alu instid0(VALU_DEP_2) | instskip(SKIP_2) | instid1(VALU_DEP_2)
	v_fmac_f32_e32 v55, 0x3f5db3d7, v60
	v_fmac_f32_e32 v17, 0x3f5db3d7, v52
	v_dual_mul_f32 v57, -0.5, v60 :: v_dual_mul_f32 v12, 0x3f5db3d7, v14
	v_add_f32_e32 v10, v46, v17
	v_dual_sub_f32 v14, v46, v17 :: v_dual_add_f32 v17, v53, v56
	v_mul_f32_e32 v54, 0x3f5db3d7, v16
	s_delay_alu instid0(VALU_DEP_4) | instskip(NEXT) | instid1(VALU_DEP_2)
	v_dual_fmac_f32 v12, 0.5, v11 :: v_dual_fmac_f32 v57, 0xbf5db3d7, v8
	v_dual_fmac_f32 v54, 0.5, v9 :: v_dual_add_f32 v9, v15, v18
	v_fmac_f32_e32 v19, 0xbf5db3d7, v72
	s_delay_alu instid0(VALU_DEP_3) | instskip(SKIP_1) | instid1(VALU_DEP_4)
	v_add_f32_e32 v8, v13, v12
	v_dual_sub_f32 v12, v13, v12 :: v_dual_sub_f32 v13, v15, v18
	v_add_f32_e32 v16, v51, v54
	s_delay_alu instid0(VALU_DEP_4)
	v_sub_f32_e32 v15, v47, v19
	v_add_f32_e32 v11, v47, v19
	v_dual_add_f32 v18, v44, v55 :: v_dual_add_f32 v19, v45, v57
	v_sub_f32_e32 v46, v51, v54
	v_dual_sub_f32 v44, v44, v55 :: v_dual_sub_f32 v47, v53, v56
	v_sub_f32_e32 v45, v45, v57
	ds_store_2addr_b64 v29, v[0:1], v[8:9] offset1:18
	ds_store_2addr_b64 v29, v[10:11], v[2:3] offset0:36 offset1:54
	ds_store_2addr_b64 v29, v[12:13], v[14:15] offset0:72 offset1:90
	ds_store_2addr_b64 v71, v[4:5], v[16:17] offset1:18
	ds_store_2addr_b64 v71, v[18:19], v[6:7] offset0:36 offset1:54
	ds_store_2addr_b64 v71, v[46:47], v[44:45] offset0:72 offset1:90
	s_and_saveexec_b32 s1, s0
	s_cbranch_execz .LBB0_23
; %bb.22:
	v_mul_u32_u24_e32 v0, 0xe38f, v27
	s_delay_alu instid0(VALU_DEP_1) | instskip(NEXT) | instid1(VALU_DEP_1)
	v_lshrrev_b32_e32 v10, 20, v0
	v_mul_lo_u16 v0, v10, 18
	v_mul_lo_u16 v10, 0x6c, v10
	s_delay_alu instid0(VALU_DEP_2) | instskip(NEXT) | instid1(VALU_DEP_1)
	v_sub_nc_u16 v0, v35, v0
	v_and_b32_e32 v11, 0xffff, v0
	s_delay_alu instid0(VALU_DEP_1) | instskip(NEXT) | instid1(VALU_DEP_1)
	v_mul_u32_u24_e32 v0, 5, v11
	v_lshlrev_b32_e32 v8, 3, v0
	s_clause 0x2
	global_load_b128 v[0:3], v8, s[8:9] offset:120
	global_load_b128 v[4:7], v8, s[8:9] offset:136
	global_load_b64 v[8:9], v8, s[8:9] offset:152
	v_and_b32_e32 v10, 0xffff, v10
	v_lshlrev_b32_e32 v11, 3, v11
	s_delay_alu instid0(VALU_DEP_2) | instskip(SKIP_2) | instid1(VALU_DEP_2)
	v_lshlrev_b32_e32 v10, 3, v10
	s_wait_loadcnt 0x1
	v_mul_f32_e32 v14, v23, v5
	v_add3_u32 v12, 0, v11, v10
	v_mul_f32_e32 v10, v39, v3
	v_mul_f32_e32 v11, v43, v7
	;; [unrolled: 1-line block ×4, first 2 shown]
	s_delay_alu instid0(VALU_DEP_4) | instskip(NEXT) | instid1(VALU_DEP_4)
	v_fma_f32 v10, v38, v2, -v10
	v_fma_f32 v11, v42, v6, -v11
	v_mul_f32_e32 v13, v37, v1
	v_mul_f32_e32 v5, v22, v5
	v_fmac_f32_e32 v7, v43, v6
	v_fma_f32 v6, v22, v4, -v14
	v_fmac_f32_e32 v3, v39, v2
	s_wait_loadcnt 0x0
	v_mul_f32_e32 v15, v41, v9
	v_dual_mul_f32 v9, v40, v9 :: v_dual_add_f32 v18, v10, v11
	v_fma_f32 v2, v36, v0, -v13
	v_mul_f32_e32 v1, v36, v1
	s_delay_alu instid0(VALU_DEP_3) | instskip(NEXT) | instid1(VALU_DEP_2)
	v_fmac_f32_e32 v9, v41, v8
	v_dual_fmac_f32 v1, v37, v0 :: v_dual_sub_f32 v0, v10, v11
	v_dual_add_f32 v10, v20, v10 :: v_dual_fmac_f32 v5, v23, v4
	s_delay_alu instid0(VALU_DEP_1) | instskip(SKIP_2) | instid1(VALU_DEP_2)
	v_sub_f32_e32 v14, v5, v9
	v_add_f32_e32 v4, v3, v7
	v_fma_f32 v13, v40, v8, -v15
	v_fma_f32 v19, -0.5, v4, v21
	s_delay_alu instid0(VALU_DEP_2) | instskip(NEXT) | instid1(VALU_DEP_1)
	v_add_f32_e32 v8, v6, v13
	v_fma_f32 v4, -0.5, v8, v2
	v_add_f32_e32 v8, v10, v11
	v_sub_f32_e32 v15, v6, v13
	v_add_f32_e32 v6, v2, v6
	s_delay_alu instid0(VALU_DEP_4) | instskip(SKIP_1) | instid1(VALU_DEP_3)
	v_fmamk_f32 v10, v14, 0xbf5db3d7, v4
	v_fmac_f32_e32 v4, 0x3f5db3d7, v14
	v_add_f32_e32 v6, v6, v13
	v_add_f32_e32 v16, v5, v9
	;; [unrolled: 1-line block ×3, first 2 shown]
	v_sub_f32_e32 v3, v3, v7
	s_delay_alu instid0(VALU_DEP_3) | instskip(SKIP_2) | instid1(VALU_DEP_3)
	v_fma_f32 v2, -0.5, v16, v1
	v_fma_f32 v16, -0.5, v18, v20
	v_add_f32_e32 v5, v1, v5
	v_fmamk_f32 v11, v15, 0x3f5db3d7, v2
	v_fmac_f32_e32 v2, 0xbf5db3d7, v15
	s_delay_alu instid0(VALU_DEP_4)
	v_fmamk_f32 v13, v3, 0xbf5db3d7, v16
	v_mul_f32_e32 v15, 0xbf5db3d7, v4
	v_dual_add_f32 v5, v5, v9 :: v_dual_fmac_f32 v16, 0x3f5db3d7, v3
	v_fmamk_f32 v9, v0, 0x3f5db3d7, v19
	v_dual_fmac_f32 v19, 0xbf5db3d7, v0 :: v_dual_sub_f32 v0, v8, v6
	v_dual_add_f32 v7, v17, v7 :: v_dual_mul_f32 v18, 0x3f5db3d7, v2
	v_mul_f32_e32 v17, -0.5, v10
	v_fmac_f32_e32 v15, 0.5, v2
	v_add_f32_e32 v2, v8, v6
	s_delay_alu instid0(VALU_DEP_4) | instskip(NEXT) | instid1(VALU_DEP_4)
	v_dual_mul_f32 v14, -0.5, v11 :: v_dual_sub_f32 v1, v7, v5
	v_dual_fmac_f32 v18, 0.5, v4 :: v_dual_fmac_f32 v17, 0x3f5db3d7, v11
	s_delay_alu instid0(VALU_DEP_2) | instskip(NEXT) | instid1(VALU_DEP_2)
	v_dual_add_f32 v3, v7, v5 :: v_dual_fmac_f32 v14, 0xbf5db3d7, v10
	v_sub_f32_e32 v6, v16, v18
	v_add_f32_e32 v10, v16, v18
	s_delay_alu instid0(VALU_DEP_4) | instskip(NEXT) | instid1(VALU_DEP_4)
	v_dual_add_f32 v8, v13, v17 :: v_dual_add_f32 v11, v19, v15
	v_sub_f32_e32 v5, v9, v14
	v_add_f32_e32 v9, v9, v14
	v_dual_sub_f32 v7, v19, v15 :: v_dual_sub_f32 v4, v13, v17
	ds_store_2addr_b64 v12, v[2:3], v[10:11] offset1:18
	ds_store_2addr_b64 v12, v[8:9], v[0:1] offset0:36 offset1:54
	ds_store_2addr_b64 v12, v[6:7], v[4:5] offset0:72 offset1:90
.LBB0_23:
	s_wait_alu 0xfffe
	s_or_b32 exec_lo, exec_lo, s1
	v_mul_u32_u24_e32 v0, 15, v26
	global_wb scope:SCOPE_SE
	s_wait_dscnt 0x0
	s_barrier_signal -1
	s_barrier_wait -1
	global_inv scope:SCOPE_SE
	v_lshlrev_b32_e32 v4, 3, v0
	v_lshl_add_u32 v7, v33, 3, 0
	v_lshl_add_u32 v6, v32, 3, 0
	;; [unrolled: 1-line block ×3, first 2 shown]
	s_mov_b32 s1, exec_lo
	s_clause 0x7
	global_load_b128 v[0:3], v4, s[8:9] offset:840
	global_load_b128 v[9:12], v4, s[8:9] offset:856
	;; [unrolled: 1-line block ×7, first 2 shown]
	global_load_b64 v[4:5], v4, s[8:9] offset:952
	ds_load_b64 v[21:22], v50
	ds_load_b64 v[71:72], v49
	ds_load_b64 v[73:74], v48
	ds_load_b64 v[75:76], v8
	ds_load_b64 v[77:78], v7
	ds_load_b64 v[79:80], v6
	v_add_nc_u32_e32 v23, 0x1000, v48
	v_add_nc_u32_e32 v82, 0x2c00, v48
	;; [unrolled: 1-line block ×5, first 2 shown]
	s_wait_loadcnt_dscnt 0x705
	v_dual_mul_f32 v85, v1, v22 :: v_dual_add_nc_u32 v84, 0xc00, v48
	v_mul_f32_e32 v1, v1, v21
	s_wait_loadcnt_dscnt 0x602
	v_mul_f32_e32 v87, v10, v76
	v_mul_f32_e32 v10, v10, v75
	s_wait_dscnt 0x1
	v_mul_f32_e32 v88, v12, v78
	v_mul_f32_e32 v12, v12, v77
	v_fma_f32 v21, v0, v21, -v85
	v_fmac_f32_e32 v1, v0, v22
	s_wait_loadcnt_dscnt 0x500
	v_mul_f32_e32 v0, v79, v14
	ds_load_2addr_b64 v[51:54], v23 offset0:136 offset1:244
	ds_load_2addr_b64 v[55:58], v27 offset0:96 offset1:204
	;; [unrolled: 1-line block ×5, first 2 shown]
	v_dual_mul_f32 v86, v3, v72 :: v_dual_mul_f32 v89, v80, v14
	v_mul_f32_e32 v3, v3, v71
	v_add_nc_u32_e32 v83, 0x400, v48
	v_fmac_f32_e32 v10, v9, v76
	s_delay_alu instid0(VALU_DEP_4)
	v_fma_f32 v22, v2, v71, -v86
	v_fma_f32 v76, v11, v77, -v88
	v_dual_fmac_f32 v3, v2, v72 :: v_dual_fmac_f32 v12, v11, v78
	v_fma_f32 v79, v79, v13, -v89
	global_wb scope:SCOPE_SE
	s_wait_loadcnt_dscnt 0x0
	s_barrier_signal -1
	s_barrier_wait -1
	global_inv scope:SCOPE_SE
	v_fmac_f32_e32 v0, v80, v13
	v_mul_f32_e32 v14, v52, v16
	v_mul_f32_e32 v2, v51, v16
	;; [unrolled: 1-line block ×3, first 2 shown]
	v_dual_mul_f32 v18, v53, v18 :: v_dual_mul_f32 v71, v56, v20
	v_mul_f32_e32 v72, v58, v37
	v_mul_f32_e32 v20, v55, v20
	v_fma_f32 v75, v9, v75, -v87
	v_mul_f32_e32 v9, v57, v37
	v_mul_f32_e32 v37, v60, v39
	;; [unrolled: 1-line block ×3, first 2 shown]
	v_dual_mul_f32 v39, v62, v41 :: v_dual_fmac_f32 v2, v52, v15
	v_dual_mul_f32 v41, v61, v41 :: v_dual_fmac_f32 v20, v56, v19
	v_dual_mul_f32 v77, v64, v43 :: v_dual_mul_f32 v78, v66, v45
	v_mul_f32_e32 v43, v63, v43
	v_fma_f32 v14, v51, v15, -v14
	v_dual_mul_f32 v15, v67, v47 :: v_dual_fmac_f32 v18, v54, v17
	v_fma_f32 v16, v53, v17, -v16
	v_fma_f32 v17, v55, v19, -v71
	;; [unrolled: 1-line block ×3, first 2 shown]
	v_fmac_f32_e32 v9, v58, v36
	v_fma_f32 v36, v59, v38, -v37
	v_fmac_f32_e32 v11, v60, v38
	v_fma_f32 v38, v63, v42, -v77
	v_mul_f32_e32 v13, v65, v45
	v_mul_f32_e32 v45, v68, v47
	v_fmac_f32_e32 v43, v64, v42
	v_mul_f32_e32 v47, v70, v5
	v_dual_mul_f32 v5, v69, v5 :: v_dual_sub_f32 v36, v22, v36
	v_fma_f32 v37, v61, v40, -v39
	v_fma_f32 v39, v65, v44, -v78
	s_delay_alu instid0(VALU_DEP_4) | instskip(NEXT) | instid1(VALU_DEP_4)
	v_fma_f32 v42, v69, v4, -v47
	v_fmac_f32_e32 v5, v70, v4
	v_fma_f32 v22, v22, 2.0, -v36
	v_sub_f32_e32 v19, v21, v19
	v_sub_f32_e32 v4, v73, v17
	;; [unrolled: 1-line block ×3, first 2 shown]
	s_delay_alu instid0(VALU_DEP_3) | instskip(SKIP_4) | instid1(VALU_DEP_4)
	v_fma_f32 v21, v21, 2.0, -v19
	v_dual_sub_f32 v17, v74, v20 :: v_dual_sub_f32 v20, v76, v38
	v_dual_sub_f32 v38, v12, v43 :: v_dual_fmac_f32 v41, v62, v40
	v_fma_f32 v40, v67, v46, -v45
	v_fma_f32 v16, v16, 2.0, -v42
	v_fma_f32 v45, v76, 2.0, -v20
	s_delay_alu instid0(VALU_DEP_4) | instskip(SKIP_4) | instid1(VALU_DEP_4)
	v_fma_f32 v12, v12, 2.0, -v38
	v_dual_sub_f32 v38, v4, v38 :: v_dual_sub_f32 v41, v10, v41
	v_dual_sub_f32 v40, v14, v40 :: v_dual_sub_f32 v11, v3, v11
	v_fmac_f32_e32 v15, v68, v46
	v_fmac_f32_e32 v13, v66, v44
	v_fma_f32 v10, v10, 2.0, -v41
	v_sub_f32_e32 v39, v79, v39
	v_fma_f32 v14, v14, 2.0, -v40
	v_fma_f32 v43, v73, 2.0, -v4
	;; [unrolled: 1-line block ×3, first 2 shown]
	s_delay_alu instid0(VALU_DEP_4) | instskip(NEXT) | instid1(VALU_DEP_4)
	v_fma_f32 v46, v79, 2.0, -v39
	v_sub_f32_e32 v14, v22, v14
	s_delay_alu instid0(VALU_DEP_2) | instskip(SKIP_2) | instid1(VALU_DEP_4)
	v_sub_f32_e32 v46, v21, v46
	v_fma_f32 v44, v74, 2.0, -v17
	v_add_f32_e32 v20, v17, v20
	v_fma_f32 v22, v22, 2.0, -v14
	s_delay_alu instid0(VALU_DEP_4) | instskip(NEXT) | instid1(VALU_DEP_4)
	v_fma_f32 v21, v21, 2.0, -v46
	v_sub_f32_e32 v12, v44, v12
	v_add_f32_e32 v40, v11, v40
	v_sub_f32_e32 v37, v75, v37
	v_fma_f32 v3, v3, 2.0, -v11
	v_fma_f32 v17, v17, 2.0, -v20
	v_add_f32_e32 v58, v12, v14
	v_fmamk_f32 v52, v40, 0x3f3504f3, v20
	v_fma_f32 v11, v11, 2.0, -v40
	v_fma_f32 v47, v75, 2.0, -v37
	v_sub_f32_e32 v9, v1, v9
	v_fma_f32 v44, v44, 2.0, -v12
	v_fma_f32 v60, v12, 2.0, -v58
	v_fmamk_f32 v56, v11, 0xbf3504f3, v17
	v_sub_f32_e32 v16, v47, v16
	v_dual_add_f32 v42, v41, v42 :: v_dual_sub_f32 v13, v0, v13
	v_fma_f32 v1, v1, 2.0, -v9
	s_delay_alu instid0(VALU_DEP_2) | instskip(NEXT) | instid1(VALU_DEP_3)
	v_fma_f32 v41, v41, 2.0, -v42
	v_fma_f32 v0, v0, 2.0, -v13
	s_delay_alu instid0(VALU_DEP_1) | instskip(NEXT) | instid1(VALU_DEP_1)
	v_dual_sub_f32 v15, v2, v15 :: v_dual_sub_f32 v0, v1, v0
	v_fma_f32 v2, v2, 2.0, -v15
	s_delay_alu instid0(VALU_DEP_2) | instskip(NEXT) | instid1(VALU_DEP_2)
	v_fma_f32 v55, v1, 2.0, -v0
	v_dual_sub_f32 v2, v3, v2 :: v_dual_sub_f32 v5, v18, v5
	v_fma_f32 v1, v47, 2.0, -v16
	v_add_f32_e32 v16, v0, v16
	s_delay_alu instid0(VALU_DEP_3) | instskip(NEXT) | instid1(VALU_DEP_4)
	v_fma_f32 v3, v3, 2.0, -v2
	v_fma_f32 v18, v18, 2.0, -v5
	v_sub_f32_e32 v45, v43, v45
	s_delay_alu instid0(VALU_DEP_4) | instskip(NEXT) | instid1(VALU_DEP_3)
	v_dual_sub_f32 v12, v21, v1 :: v_dual_fmamk_f32 v1, v16, 0x3f3504f3, v58
	v_dual_sub_f32 v18, v10, v18 :: v_dual_add_f32 v39, v9, v39
	s_delay_alu instid0(VALU_DEP_3) | instskip(SKIP_1) | instid1(VALU_DEP_3)
	v_fma_f32 v43, v43, 2.0, -v45
	v_sub_f32_e32 v5, v37, v5
	v_fma_f32 v10, v10, 2.0, -v18
	s_delay_alu instid0(VALU_DEP_4) | instskip(NEXT) | instid1(VALU_DEP_4)
	v_fmamk_f32 v54, v42, 0x3f3504f3, v39
	v_sub_f32_e32 v22, v43, v22
	v_sub_f32_e32 v13, v19, v13
	v_fma_f32 v37, v37, 2.0, -v5
	v_fma_f32 v9, v9, 2.0, -v39
	v_fmac_f32_e32 v54, 0x3f3504f3, v5
	s_delay_alu instid0(VALU_DEP_4) | instskip(SKIP_1) | instid1(VALU_DEP_3)
	v_fma_f32 v19, v19, 2.0, -v13
	v_sub_f32_e32 v15, v36, v15
	v_fma_f32 v39, v39, 2.0, -v54
	s_delay_alu instid0(VALU_DEP_2) | instskip(NEXT) | instid1(VALU_DEP_1)
	v_fmamk_f32 v51, v15, 0x3f3504f3, v38
	v_fmac_f32_e32 v51, 0xbf3504f3, v40
	v_fmamk_f32 v40, v37, 0xbf3504f3, v19
	v_fma_f32 v36, v36, 2.0, -v15
	v_dual_fmac_f32 v52, 0x3f3504f3, v15 :: v_dual_fmamk_f32 v53, v5, 0x3f3504f3, v13
	s_delay_alu instid0(VALU_DEP_3) | instskip(NEXT) | instid1(VALU_DEP_3)
	v_fmac_f32_e32 v40, 0xbf3504f3, v41
	v_fmac_f32_e32 v56, 0x3f3504f3, v36
	s_delay_alu instid0(VALU_DEP_3) | instskip(NEXT) | instid1(VALU_DEP_4)
	v_fma_f32 v61, v20, 2.0, -v52
	v_fmac_f32_e32 v53, 0xbf3504f3, v42
	v_dual_sub_f32 v15, v46, v18 :: v_dual_sub_f32 v42, v44, v3
	v_fmamk_f32 v47, v36, 0xbf3504f3, v4
	v_sub_f32_e32 v57, v45, v2
	v_fma_f32 v36, v0, 2.0, -v16
	v_fmamk_f32 v2, v53, 0x3f6c835e, v51
	v_fma_f32 v20, v46, 2.0, -v15
	v_fma_f32 v46, v17, 2.0, -v56
	v_fma_f32 v45, v45, 2.0, -v57
	v_fmamk_f32 v0, v15, 0x3f3504f3, v57
	v_fmamk_f32 v59, v41, 0xbf3504f3, v9
	v_fma_f32 v41, v43, 2.0, -v22
	v_fma_f32 v43, v44, 2.0, -v42
	;; [unrolled: 1-line block ×3, first 2 shown]
	v_fmac_f32_e32 v0, 0xbf3504f3, v16
	v_dual_add_f32 v12, v42, v12 :: v_dual_fmac_f32 v47, 0xbf3504f3, v11
	v_sub_f32_e32 v11, v55, v10
	v_fma_f32 v38, v38, 2.0, -v51
	v_fmac_f32_e32 v59, 0x3f3504f3, v37
	v_fmamk_f32 v3, v54, 0x3f6c835e, v52
	v_fmamk_f32 v5, v36, 0xbf3504f3, v60
	v_fma_f32 v18, v55, 2.0, -v11
	v_fma_f32 v55, v19, 2.0, -v40
	;; [unrolled: 1-line block ×3, first 2 shown]
	v_fmamk_f32 v10, v39, 0xbec3ef15, v61
	v_fmamk_f32 v14, v59, 0x3ec3ef15, v56
	v_sub_f32_e32 v16, v43, v18
	v_fma_f32 v44, v4, 2.0, -v47
	v_dual_fmamk_f32 v4, v20, 0xbf3504f3, v45 :: v_dual_sub_f32 v11, v22, v11
	v_fmac_f32_e32 v1, 0x3f3504f3, v15
	v_dual_fmac_f32 v2, 0xbec3ef15, v54 :: v_dual_sub_f32 v15, v41, v17
	s_delay_alu instid0(VALU_DEP_3)
	v_fmac_f32_e32 v4, 0xbf3504f3, v36
	v_fma_f32 v37, v13, 2.0, -v53
	v_fmac_f32_e32 v3, 0x3ec3ef15, v53
	v_fmamk_f32 v17, v55, 0xbf6c835e, v44
	v_fmac_f32_e32 v5, 0x3f3504f3, v20
	v_fmac_f32_e32 v14, 0x3f6c835e, v40
	v_fmamk_f32 v9, v37, 0xbec3ef15, v38
	v_fmamk_f32 v18, v62, 0xbf6c835e, v46
	v_fmac_f32_e32 v10, 0x3f6c835e, v37
	v_fma_f32 v19, v22, 2.0, -v11
	v_fma_f32 v21, v57, 2.0, -v0
	v_fmac_f32_e32 v9, 0xbf6c835e, v39
	v_dual_fmamk_f32 v13, v40, 0x3ec3ef15, v47 :: v_dual_fmac_f32 v18, 0x3ec3ef15, v55
	v_fma_f32 v22, v58, 2.0, -v1
	v_fma_f32 v36, v51, 2.0, -v2
	;; [unrolled: 1-line block ×3, first 2 shown]
	s_delay_alu instid0(VALU_DEP_4)
	v_fmac_f32_e32 v13, 0xbf6c835e, v59
	v_fmac_f32_e32 v17, 0xbec3ef15, v62
	ds_store_2addr_b64 v82, v[0:1], v[2:3] offset0:104 offset1:212
	v_fma_f32 v2, v45, 2.0, -v4
	v_fma_f32 v3, v60, 2.0, -v5
	;; [unrolled: 1-line block ×9, first 2 shown]
	ds_store_2addr_b64 v23, v[21:22], v[36:37] offset0:136 offset1:244
	ds_store_2addr_b64 v29, v[4:5], v[9:10] offset0:56 offset1:164
	v_fma_f32 v4, v44, 2.0, -v17
	v_fma_f32 v5, v46, 2.0, -v18
	ds_store_2addr_b64 v81, v[11:12], v[13:14] offset0:16 offset1:124
	ds_store_2addr_b64 v83, v[2:3], v[38:39] offset0:88 offset1:196
	;; [unrolled: 1-line block ×4, first 2 shown]
	ds_store_2addr_b64 v48, v[0:1], v[4:5] offset1:108
	global_wb scope:SCOPE_SE
	s_wait_dscnt 0x0
	s_barrier_signal -1
	s_barrier_wait -1
	global_inv scope:SCOPE_SE
	ds_load_b64 v[4:5], v48
	v_lshlrev_b32_e32 v0, 3, v26
                                        ; implicit-def: $vgpr10
                                        ; implicit-def: $vgpr11
                                        ; implicit-def: $vgpr2_vgpr3
	s_delay_alu instid0(VALU_DEP_1)
	v_sub_nc_u32_e32 v9, 0, v0
                                        ; implicit-def: $vgpr0
	v_cmpx_ne_u32_e32 0, v26
	s_wait_alu 0xfffe
	s_xor_b32 s1, exec_lo, s1
	s_cbranch_execz .LBB0_25
; %bb.24:
	ds_load_b64 v[2:3], v9 offset:13824
	s_wait_dscnt 0x0
	v_dual_mov_b32 v27, 0 :: v_dual_sub_f32 v10, v4, v2
	s_delay_alu instid0(VALU_DEP_1) | instskip(SKIP_1) | instid1(VALU_DEP_1)
	v_lshlrev_b64_e32 v[0:1], 3, v[26:27]
	v_dual_add_f32 v11, v3, v5 :: v_dual_add_f32 v2, v2, v4
	v_mul_f32_e32 v12, 0.5, v11
	s_delay_alu instid0(VALU_DEP_3) | instskip(SKIP_1) | instid1(VALU_DEP_4)
	v_add_co_u32 v0, s0, s8, v0
	s_wait_alu 0xf1ff
	v_add_co_ci_u32_e64 v1, s0, s9, v1, s0
	global_load_b64 v[0:1], v[0:1], off offset:13800
	v_sub_f32_e32 v3, v5, v3
	v_mul_f32_e32 v5, 0.5, v10
	s_wait_loadcnt 0x0
	s_delay_alu instid0(VALU_DEP_1) | instskip(NEXT) | instid1(VALU_DEP_1)
	v_mul_f32_e32 v4, v1, v5
	v_fma_f32 v10, 0.5, v2, v4
	v_fma_f32 v2, v2, 0.5, -v4
	s_delay_alu instid0(VALU_DEP_2) | instskip(NEXT) | instid1(VALU_DEP_1)
	v_dual_fmac_f32 v10, v0, v12 :: v_dual_mul_f32 v3, 0.5, v3
	v_fma_f32 v11, v12, v1, v3
	v_fma_f32 v1, v12, v1, -v3
	s_delay_alu instid0(VALU_DEP_2) | instskip(NEXT) | instid1(VALU_DEP_2)
	v_fma_f32 v11, -v0, v5, v11
	v_fma_f32 v1, -v0, v5, v1
	;; [unrolled: 1-line block ×3, first 2 shown]
	v_dual_mov_b32 v2, v26 :: v_dual_mov_b32 v3, v27
                                        ; implicit-def: $vgpr4_vgpr5
.LBB0_25:
	s_wait_alu 0xfffe
	s_and_not1_saveexec_b32 s0, s1
	s_cbranch_execz .LBB0_27
; %bb.26:
	s_wait_dscnt 0x0
	v_dual_mov_b32 v11, 0 :: v_dual_add_f32 v10, v4, v5
	v_mov_b32_e32 v2, 0
	v_dual_sub_f32 v0, v4, v5 :: v_dual_mov_b32 v3, 0
	ds_load_b32 v1, v11 offset:6916
	s_wait_dscnt 0x0
	v_xor_b32_e32 v4, 0x80000000, v1
	v_mov_b32_e32 v1, 0
	ds_store_b32 v11, v4 offset:6916
.LBB0_27:
	s_wait_alu 0xfffe
	s_or_b32 exec_lo, exec_lo, s0
	v_mov_b32_e32 v29, 0
	v_lshlrev_b64_e32 v[2:3], 3, v[2:3]
	s_wait_dscnt 0x0
	s_delay_alu instid0(VALU_DEP_2) | instskip(SKIP_1) | instid1(VALU_DEP_1)
	v_lshlrev_b64_e32 v[4:5], 3, v[28:29]
	v_mov_b32_e32 v36, v29
	v_lshlrev_b64_e32 v[12:13], 3, v[35:36]
	v_mov_b32_e32 v35, v29
	s_delay_alu instid0(VALU_DEP_4) | instskip(SKIP_2) | instid1(VALU_DEP_4)
	v_add_co_u32 v4, s0, s8, v4
	s_wait_alu 0xf1ff
	v_add_co_ci_u32_e64 v5, s0, s9, v5, s0
	v_add_co_u32 v12, s0, s8, v12
	s_wait_alu 0xf1ff
	v_add_co_ci_u32_e64 v13, s0, s9, v13, s0
	global_load_b64 v[4:5], v[4:5], off offset:13800
	v_lshlrev_b64_e32 v[14:15], 3, v[34:35]
	v_mov_b32_e32 v34, v29
	global_load_b64 v[12:13], v[12:13], off offset:13800
	v_add_co_u32 v14, s0, s8, v14
	s_wait_alu 0xf1ff
	v_add_co_ci_u32_e64 v15, s0, s9, v15, s0
	v_lshlrev_b64_e32 v[16:17], 3, v[33:34]
	v_mov_b32_e32 v33, v29
	global_load_b64 v[14:15], v[14:15], off offset:13800
	v_add_co_u32 v16, s0, s8, v16
	s_wait_alu 0xf1ff
	v_add_co_ci_u32_e64 v17, s0, s9, v17, s0
	v_lshlrev_b64_e32 v[18:19], 3, v[32:33]
	global_load_b64 v[16:17], v[16:17], off offset:13800
	v_add_co_u32 v18, s0, s8, v18
	s_wait_alu 0xf1ff
	v_add_co_ci_u32_e64 v19, s0, s9, v19, s0
	s_add_nc_u64 s[0:1], s[8:9], 0x35e8
	s_wait_alu 0xfffe
	v_add_co_u32 v2, s0, s0, v2
	global_load_b64 v[18:19], v[18:19], off offset:13800
	s_wait_alu 0xf1ff
	v_add_co_ci_u32_e64 v3, s0, s1, v3, s0
	global_load_b64 v[20:21], v[2:3], off offset:5184
	ds_store_2addr_b32 v48, v10, v11 offset1:1
	ds_store_b64 v9, v[0:1] offset:13824
	global_load_b64 v[0:1], v[2:3], off offset:6048
	ds_load_b64 v[2:3], v50
	ds_load_b64 v[10:11], v9 offset:12960
	s_wait_dscnt 0x0
	v_dual_sub_f32 v22, v2, v10 :: v_dual_add_f32 v23, v3, v11
	v_dual_add_f32 v2, v2, v10 :: v_dual_sub_f32 v3, v3, v11
	s_delay_alu instid0(VALU_DEP_2) | instskip(NEXT) | instid1(VALU_DEP_2)
	v_dual_mul_f32 v11, 0.5, v22 :: v_dual_mul_f32 v22, 0.5, v23
	v_mul_f32_e32 v3, 0.5, v3
	s_wait_loadcnt 0x6
	s_delay_alu instid0(VALU_DEP_2) | instskip(NEXT) | instid1(VALU_DEP_2)
	v_mul_f32_e32 v10, v5, v11
	v_fma_f32 v23, v22, v5, v3
	v_fma_f32 v3, v22, v5, -v3
	s_delay_alu instid0(VALU_DEP_3) | instskip(NEXT) | instid1(VALU_DEP_2)
	v_fma_f32 v5, 0.5, v2, v10
	v_fma_f32 v3, -v4, v11, v3
	s_delay_alu instid0(VALU_DEP_2) | instskip(SKIP_2) | instid1(VALU_DEP_2)
	v_fmac_f32_e32 v5, v4, v22
	v_fma_f32 v2, v2, 0.5, -v10
	v_fma_f32 v10, -v4, v11, v23
	v_fma_f32 v2, -v4, v22, v2
	ds_store_b32 v50, v10 offset:4
	ds_store_b32 v9, v3 offset:12964
	ds_store_b32 v50, v5
	ds_store_b32 v9, v2 offset:12960
	ds_load_b64 v[2:3], v49
	ds_load_b64 v[4:5], v9 offset:12096
	s_wait_dscnt 0x0
	v_dual_sub_f32 v10, v2, v4 :: v_dual_add_f32 v11, v3, v5
	v_dual_sub_f32 v3, v3, v5 :: v_dual_add_f32 v2, v2, v4
	s_delay_alu instid0(VALU_DEP_2) | instskip(SKIP_1) | instid1(VALU_DEP_1)
	v_dual_mul_f32 v5, 0.5, v10 :: v_dual_mul_f32 v10, 0.5, v11
	s_wait_loadcnt 0x5
	v_dual_mul_f32 v3, 0.5, v3 :: v_dual_mul_f32 v4, v13, v5
	s_delay_alu instid0(VALU_DEP_1) | instskip(SKIP_1) | instid1(VALU_DEP_3)
	v_fma_f32 v11, v10, v13, v3
	v_fma_f32 v3, v10, v13, -v3
	v_fma_f32 v13, 0.5, v2, v4
	v_fma_f32 v2, v2, 0.5, -v4
	s_delay_alu instid0(VALU_DEP_4) | instskip(NEXT) | instid1(VALU_DEP_4)
	v_fma_f32 v4, -v12, v5, v11
	v_fma_f32 v3, -v12, v5, v3
	s_delay_alu instid0(VALU_DEP_4) | instskip(NEXT) | instid1(VALU_DEP_4)
	v_fmac_f32_e32 v13, v12, v10
	v_fma_f32 v2, -v12, v10, v2
	ds_store_2addr_b32 v49, v13, v4 offset1:1
	ds_store_b64 v9, v[2:3] offset:12096
	ds_load_b64 v[2:3], v8
	ds_load_b64 v[4:5], v9 offset:11232
	s_wait_dscnt 0x0
	v_sub_f32_e32 v10, v2, v4
	v_dual_add_f32 v2, v2, v4 :: v_dual_add_f32 v11, v3, v5
	v_sub_f32_e32 v3, v3, v5
	s_delay_alu instid0(VALU_DEP_2) | instskip(SKIP_1) | instid1(VALU_DEP_1)
	v_dual_mul_f32 v5, 0.5, v10 :: v_dual_mul_f32 v10, 0.5, v11
	s_wait_loadcnt 0x4
	v_dual_mul_f32 v3, 0.5, v3 :: v_dual_mul_f32 v4, v15, v5
	s_delay_alu instid0(VALU_DEP_1) | instskip(SKIP_1) | instid1(VALU_DEP_3)
	v_fma_f32 v11, v10, v15, v3
	v_fma_f32 v3, v10, v15, -v3
	v_fma_f32 v12, 0.5, v2, v4
	v_fma_f32 v2, v2, 0.5, -v4
	s_delay_alu instid0(VALU_DEP_4) | instskip(NEXT) | instid1(VALU_DEP_4)
	v_fma_f32 v4, -v14, v5, v11
	v_fma_f32 v3, -v14, v5, v3
	s_delay_alu instid0(VALU_DEP_4) | instskip(NEXT) | instid1(VALU_DEP_4)
	v_fmac_f32_e32 v12, v14, v10
	v_fma_f32 v2, -v14, v10, v2
	ds_store_2addr_b32 v8, v12, v4 offset1:1
	ds_store_b64 v9, v[2:3] offset:11232
	ds_load_b64 v[2:3], v7
	ds_load_b64 v[4:5], v9 offset:10368
	s_wait_dscnt 0x0
	v_sub_f32_e32 v8, v2, v4
	v_add_f32_e32 v10, v3, v5
	v_dual_sub_f32 v3, v3, v5 :: v_dual_add_f32 v2, v2, v4
	s_delay_alu instid0(VALU_DEP_2) | instskip(SKIP_1) | instid1(VALU_DEP_1)
	v_dual_mul_f32 v5, 0.5, v8 :: v_dual_mul_f32 v8, 0.5, v10
	s_wait_loadcnt 0x3
	v_dual_mul_f32 v3, 0.5, v3 :: v_dual_mul_f32 v4, v17, v5
	s_delay_alu instid0(VALU_DEP_1) | instskip(SKIP_1) | instid1(VALU_DEP_3)
	v_fma_f32 v10, v8, v17, v3
	v_fma_f32 v3, v8, v17, -v3
	v_fma_f32 v11, 0.5, v2, v4
	v_fma_f32 v2, v2, 0.5, -v4
	s_delay_alu instid0(VALU_DEP_4) | instskip(NEXT) | instid1(VALU_DEP_4)
	v_fma_f32 v4, -v16, v5, v10
	v_fma_f32 v3, -v16, v5, v3
	s_delay_alu instid0(VALU_DEP_4) | instskip(NEXT) | instid1(VALU_DEP_4)
	v_fmac_f32_e32 v11, v16, v8
	v_fma_f32 v2, -v16, v8, v2
	ds_store_2addr_b32 v7, v11, v4 offset1:1
	ds_store_b64 v9, v[2:3] offset:10368
	ds_load_b64 v[2:3], v6
	ds_load_b64 v[4:5], v9 offset:9504
	s_wait_dscnt 0x0
	v_dual_add_f32 v8, v3, v5 :: v_dual_sub_f32 v7, v2, v4
	v_dual_sub_f32 v3, v3, v5 :: v_dual_add_f32 v2, v2, v4
	s_delay_alu instid0(VALU_DEP_2) | instskip(NEXT) | instid1(VALU_DEP_3)
	v_mul_f32_e32 v5, 0.5, v7
	v_mul_f32_e32 v7, 0.5, v8
	s_wait_loadcnt 0x2
	s_delay_alu instid0(VALU_DEP_2) | instskip(NEXT) | instid1(VALU_DEP_1)
	v_dual_mul_f32 v3, 0.5, v3 :: v_dual_mul_f32 v4, v19, v5
	v_fma_f32 v8, v7, v19, v3
	v_fma_f32 v3, v7, v19, -v3
	s_delay_alu instid0(VALU_DEP_3) | instskip(SKIP_1) | instid1(VALU_DEP_4)
	v_fma_f32 v10, 0.5, v2, v4
	v_fma_f32 v2, v2, 0.5, -v4
	v_fma_f32 v4, -v18, v5, v8
	s_delay_alu instid0(VALU_DEP_4) | instskip(NEXT) | instid1(VALU_DEP_4)
	v_fma_f32 v3, -v18, v5, v3
	v_fmac_f32_e32 v10, v18, v7
	s_delay_alu instid0(VALU_DEP_4)
	v_fma_f32 v2, -v18, v7, v2
	ds_store_2addr_b32 v6, v10, v4 offset1:1
	ds_store_b64 v9, v[2:3] offset:9504
	ds_load_b64 v[2:3], v48 offset:5184
	ds_load_b64 v[4:5], v9 offset:8640
	s_wait_dscnt 0x0
	v_dual_add_f32 v7, v3, v5 :: v_dual_add_nc_u32 v10, 0x1400, v48
	v_dual_sub_f32 v6, v2, v4 :: v_dual_sub_f32 v3, v3, v5
	s_delay_alu instid0(VALU_DEP_1) | instskip(NEXT) | instid1(VALU_DEP_3)
	v_dual_add_f32 v2, v2, v4 :: v_dual_mul_f32 v5, 0.5, v6
	v_mul_f32_e32 v6, 0.5, v7
	s_wait_loadcnt 0x1
	s_delay_alu instid0(VALU_DEP_2) | instskip(NEXT) | instid1(VALU_DEP_1)
	v_mul_f32_e32 v4, v21, v5
	v_fma_f32 v8, 0.5, v2, v4
	v_mul_f32_e32 v3, 0.5, v3
	v_fma_f32 v2, v2, 0.5, -v4
	s_delay_alu instid0(VALU_DEP_3) | instskip(NEXT) | instid1(VALU_DEP_3)
	v_fmac_f32_e32 v8, v20, v6
	v_fma_f32 v7, v6, v21, v3
	v_fma_f32 v3, v6, v21, -v3
	s_delay_alu instid0(VALU_DEP_4) | instskip(NEXT) | instid1(VALU_DEP_3)
	v_fma_f32 v2, -v20, v6, v2
	v_fma_f32 v4, -v20, v5, v7
	s_delay_alu instid0(VALU_DEP_3)
	v_fma_f32 v3, -v20, v5, v3
	ds_store_2addr_b32 v10, v8, v4 offset0:16 offset1:17
	ds_store_b64 v9, v[2:3] offset:8640
	ds_load_b64 v[2:3], v48 offset:6048
	ds_load_b64 v[4:5], v9 offset:7776
	s_wait_dscnt 0x0
	v_dual_sub_f32 v6, v2, v4 :: v_dual_add_f32 v7, v3, v5
	v_dual_sub_f32 v3, v3, v5 :: v_dual_add_f32 v2, v2, v4
	s_delay_alu instid0(VALU_DEP_2) | instskip(SKIP_1) | instid1(VALU_DEP_1)
	v_dual_mul_f32 v5, 0.5, v6 :: v_dual_mul_f32 v6, 0.5, v7
	s_wait_loadcnt 0x0
	v_dual_mul_f32 v3, 0.5, v3 :: v_dual_mul_f32 v4, v1, v5
	s_delay_alu instid0(VALU_DEP_1) | instskip(SKIP_1) | instid1(VALU_DEP_3)
	v_fma_f32 v7, v6, v1, v3
	v_fma_f32 v1, v6, v1, -v3
	v_fma_f32 v3, 0.5, v2, v4
	v_fma_f32 v2, v2, 0.5, -v4
	s_delay_alu instid0(VALU_DEP_4) | instskip(NEXT) | instid1(VALU_DEP_4)
	v_fma_f32 v4, -v0, v5, v7
	v_fma_f32 v1, -v0, v5, v1
	s_delay_alu instid0(VALU_DEP_4) | instskip(NEXT) | instid1(VALU_DEP_4)
	v_fmac_f32_e32 v3, v0, v6
	v_fma_f32 v0, -v0, v6, v2
	ds_store_2addr_b32 v10, v3, v4 offset0:232 offset1:233
	ds_store_b64 v9, v[0:1] offset:7776
	global_wb scope:SCOPE_SE
	s_wait_dscnt 0x0
	s_barrier_signal -1
	s_barrier_wait -1
	global_inv scope:SCOPE_SE
	s_and_saveexec_b32 s0, vcc_lo
	s_cbranch_execz .LBB0_30
; %bb.28:
	v_mul_lo_u32 v2, s3, v30
	v_mul_lo_u32 v3, s2, v31
	v_mad_co_u64_u32 v[0:1], null, s2, v30, 0
	v_lshl_add_u32 v20, v26, 3, 0
	v_dual_mov_b32 v27, v29 :: v_dual_add_nc_u32 v28, 0x6c, v26
	v_lshlrev_b64_e32 v[10:11], 3, v[24:25]
	s_delay_alu instid0(VALU_DEP_3) | instskip(SKIP_1) | instid1(VALU_DEP_4)
	v_add_nc_u32_e32 v6, 0x400, v20
	v_add3_u32 v1, v1, v3, v2
	v_lshlrev_b64_e32 v[12:13], 3, v[26:27]
	ds_load_2addr_b64 v[2:5], v20 offset1:108
	v_lshlrev_b64_e32 v[14:15], 3, v[28:29]
	v_add_nc_u32_e32 v28, 0xd8, v26
	v_lshlrev_b64_e32 v[0:1], 3, v[0:1]
	ds_load_2addr_b64 v[6:9], v6 offset0:88 offset1:196
	v_add_nc_u32_e32 v21, 0xc00, v20
	v_lshlrev_b64_e32 v[16:17], 3, v[28:29]
	v_add_nc_u32_e32 v28, 0x144, v26
	v_add_co_u32 v0, vcc_lo, s6, v0
	s_wait_alu 0xfffd
	v_add_co_ci_u32_e32 v1, vcc_lo, s7, v1, vcc_lo
	s_delay_alu instid0(VALU_DEP_2) | instskip(SKIP_1) | instid1(VALU_DEP_2)
	v_add_co_u32 v0, vcc_lo, v0, v10
	s_wait_alu 0xfffd
	v_add_co_ci_u32_e32 v1, vcc_lo, v1, v11, vcc_lo
	s_delay_alu instid0(VALU_DEP_2) | instskip(SKIP_1) | instid1(VALU_DEP_2)
	v_add_co_u32 v10, vcc_lo, v0, v12
	s_wait_alu 0xfffd
	v_add_co_ci_u32_e32 v11, vcc_lo, v1, v13, vcc_lo
	v_add_co_u32 v12, vcc_lo, v0, v14
	s_wait_alu 0xfffd
	v_add_co_ci_u32_e32 v13, vcc_lo, v1, v15, vcc_lo
	v_lshlrev_b64_e32 v[14:15], 3, v[28:29]
	v_add_co_u32 v16, vcc_lo, v0, v16
	v_add_nc_u32_e32 v28, 0x1b0, v26
	s_wait_alu 0xfffd
	v_add_co_ci_u32_e32 v17, vcc_lo, v1, v17, vcc_lo
	s_delay_alu instid0(VALU_DEP_4)
	v_add_co_u32 v14, vcc_lo, v0, v14
	s_wait_alu 0xfffd
	v_add_co_ci_u32_e32 v15, vcc_lo, v1, v15, vcc_lo
	v_lshlrev_b64_e32 v[18:19], 3, v[28:29]
	v_add_nc_u32_e32 v28, 0x21c, v26
	s_wait_dscnt 0x1
	s_clause 0x1
	global_store_b64 v[10:11], v[2:3], off
	global_store_b64 v[12:13], v[4:5], off
	s_wait_dscnt 0x0
	s_clause 0x1
	global_store_b64 v[16:17], v[6:7], off
	global_store_b64 v[14:15], v[8:9], off
	v_add_nc_u32_e32 v6, 0x1000, v20
	ds_load_2addr_b64 v[2:5], v21 offset0:48 offset1:156
	v_add_nc_u32_e32 v21, 0x1800, v20
	v_lshlrev_b64_e32 v[10:11], 3, v[28:29]
	v_add_nc_u32_e32 v28, 0x288, v26
	ds_load_2addr_b64 v[6:9], v6 offset0:136 offset1:244
	v_add_co_u32 v12, vcc_lo, v0, v18
	s_wait_alu 0xfffd
	v_add_co_ci_u32_e32 v13, vcc_lo, v1, v19, vcc_lo
	v_lshlrev_b64_e32 v[14:15], 3, v[28:29]
	v_add_nc_u32_e32 v28, 0x2f4, v26
	v_add_co_u32 v10, vcc_lo, v0, v10
	s_wait_alu 0xfffd
	v_add_co_ci_u32_e32 v11, vcc_lo, v1, v11, vcc_lo
	s_delay_alu instid0(VALU_DEP_3) | instskip(SKIP_4) | instid1(VALU_DEP_4)
	v_lshlrev_b64_e32 v[16:17], 3, v[28:29]
	v_add_co_u32 v14, vcc_lo, v0, v14
	v_add_nc_u32_e32 v28, 0x360, v26
	s_wait_alu 0xfffd
	v_add_co_ci_u32_e32 v15, vcc_lo, v1, v15, vcc_lo
	v_add_co_u32 v16, vcc_lo, v0, v16
	s_wait_alu 0xfffd
	v_add_co_ci_u32_e32 v17, vcc_lo, v1, v17, vcc_lo
	v_lshlrev_b64_e32 v[18:19], 3, v[28:29]
	v_add_nc_u32_e32 v28, 0x3cc, v26
	s_wait_dscnt 0x1
	s_clause 0x1
	global_store_b64 v[12:13], v[2:3], off
	global_store_b64 v[10:11], v[4:5], off
	s_wait_dscnt 0x0
	s_clause 0x1
	global_store_b64 v[14:15], v[6:7], off
	global_store_b64 v[16:17], v[8:9], off
	v_add_nc_u32_e32 v6, 0x2000, v20
	ds_load_2addr_b64 v[2:5], v21 offset0:96 offset1:204
	v_add_nc_u32_e32 v21, 0x2800, v20
	v_lshlrev_b64_e32 v[10:11], 3, v[28:29]
	v_add_nc_u32_e32 v28, 0x438, v26
	ds_load_2addr_b64 v[6:9], v6 offset0:56 offset1:164
	v_add_co_u32 v12, vcc_lo, v0, v18
	s_wait_alu 0xfffd
	v_add_co_ci_u32_e32 v13, vcc_lo, v1, v19, vcc_lo
	v_lshlrev_b64_e32 v[14:15], 3, v[28:29]
	v_add_nc_u32_e32 v28, 0x4a4, v26
	v_add_co_u32 v10, vcc_lo, v0, v10
	s_wait_alu 0xfffd
	v_add_co_ci_u32_e32 v11, vcc_lo, v1, v11, vcc_lo
	s_delay_alu instid0(VALU_DEP_3) | instskip(SKIP_4) | instid1(VALU_DEP_3)
	v_lshlrev_b64_e32 v[16:17], 3, v[28:29]
	v_add_nc_u32_e32 v28, 0x510, v26
	v_add_co_u32 v14, vcc_lo, v0, v14
	s_wait_alu 0xfffd
	v_add_co_ci_u32_e32 v15, vcc_lo, v1, v15, vcc_lo
	v_lshlrev_b64_e32 v[18:19], 3, v[28:29]
	v_add_nc_u32_e32 v28, 0x57c, v26
	v_add_co_u32 v16, vcc_lo, v0, v16
	s_wait_alu 0xfffd
	v_add_co_ci_u32_e32 v17, vcc_lo, v1, v17, vcc_lo
	s_wait_dscnt 0x1
	s_clause 0x1
	global_store_b64 v[12:13], v[2:3], off
	global_store_b64 v[10:11], v[4:5], off
	s_wait_dscnt 0x0
	s_clause 0x1
	global_store_b64 v[14:15], v[6:7], off
	global_store_b64 v[16:17], v[8:9], off
	v_lshlrev_b64_e32 v[10:11], 3, v[28:29]
	v_add_nc_u32_e32 v28, 0x5e8, v26
	v_add_nc_u32_e32 v20, 0x2c00, v20
	ds_load_2addr_b64 v[2:5], v21 offset0:16 offset1:124
	v_add_co_u32 v12, vcc_lo, v0, v18
	v_lshlrev_b64_e32 v[14:15], 3, v[28:29]
	v_add_nc_u32_e32 v28, 0x654, v26
	ds_load_2addr_b64 v[6:9], v20 offset0:104 offset1:212
	s_wait_alu 0xfffd
	v_add_co_ci_u32_e32 v13, vcc_lo, v1, v19, vcc_lo
	v_add_co_u32 v10, vcc_lo, v0, v10
	v_lshlrev_b64_e32 v[16:17], 3, v[28:29]
	s_wait_alu 0xfffd
	v_add_co_ci_u32_e32 v11, vcc_lo, v1, v11, vcc_lo
	v_add_co_u32 v14, vcc_lo, v0, v14
	s_wait_alu 0xfffd
	v_add_co_ci_u32_e32 v15, vcc_lo, v1, v15, vcc_lo
	v_add_co_u32 v16, vcc_lo, v0, v16
	s_wait_alu 0xfffd
	v_add_co_ci_u32_e32 v17, vcc_lo, v1, v17, vcc_lo
	v_cmp_eq_u32_e32 vcc_lo, 0x6b, v26
	s_wait_dscnt 0x1
	s_clause 0x1
	global_store_b64 v[12:13], v[2:3], off
	global_store_b64 v[10:11], v[4:5], off
	s_wait_dscnt 0x0
	s_clause 0x1
	global_store_b64 v[14:15], v[6:7], off
	global_store_b64 v[16:17], v[8:9], off
	s_and_b32 exec_lo, exec_lo, vcc_lo
	s_cbranch_execz .LBB0_30
; %bb.29:
	v_mov_b32_e32 v2, 0
	ds_load_b64 v[2:3], v2 offset:13824
	s_wait_dscnt 0x0
	global_store_b64 v[0:1], v[2:3], off offset:13824
.LBB0_30:
	s_nop 0
	s_sendmsg sendmsg(MSG_DEALLOC_VGPRS)
	s_endpgm
	.section	.rodata,"a",@progbits
	.p2align	6, 0x0
	.amdhsa_kernel fft_rtc_fwd_len1728_factors_3_6_6_16_wgs_108_tpt_108_halfLds_sp_op_CI_CI_unitstride_sbrr_R2C_dirReg
		.amdhsa_group_segment_fixed_size 0
		.amdhsa_private_segment_fixed_size 0
		.amdhsa_kernarg_size 104
		.amdhsa_user_sgpr_count 2
		.amdhsa_user_sgpr_dispatch_ptr 0
		.amdhsa_user_sgpr_queue_ptr 0
		.amdhsa_user_sgpr_kernarg_segment_ptr 1
		.amdhsa_user_sgpr_dispatch_id 0
		.amdhsa_user_sgpr_private_segment_size 0
		.amdhsa_wavefront_size32 1
		.amdhsa_uses_dynamic_stack 0
		.amdhsa_enable_private_segment 0
		.amdhsa_system_sgpr_workgroup_id_x 1
		.amdhsa_system_sgpr_workgroup_id_y 0
		.amdhsa_system_sgpr_workgroup_id_z 0
		.amdhsa_system_sgpr_workgroup_info 0
		.amdhsa_system_vgpr_workitem_id 0
		.amdhsa_next_free_vgpr 92
		.amdhsa_next_free_sgpr 39
		.amdhsa_reserve_vcc 1
		.amdhsa_float_round_mode_32 0
		.amdhsa_float_round_mode_16_64 0
		.amdhsa_float_denorm_mode_32 3
		.amdhsa_float_denorm_mode_16_64 3
		.amdhsa_fp16_overflow 0
		.amdhsa_workgroup_processor_mode 1
		.amdhsa_memory_ordered 1
		.amdhsa_forward_progress 0
		.amdhsa_round_robin_scheduling 0
		.amdhsa_exception_fp_ieee_invalid_op 0
		.amdhsa_exception_fp_denorm_src 0
		.amdhsa_exception_fp_ieee_div_zero 0
		.amdhsa_exception_fp_ieee_overflow 0
		.amdhsa_exception_fp_ieee_underflow 0
		.amdhsa_exception_fp_ieee_inexact 0
		.amdhsa_exception_int_div_zero 0
	.end_amdhsa_kernel
	.text
.Lfunc_end0:
	.size	fft_rtc_fwd_len1728_factors_3_6_6_16_wgs_108_tpt_108_halfLds_sp_op_CI_CI_unitstride_sbrr_R2C_dirReg, .Lfunc_end0-fft_rtc_fwd_len1728_factors_3_6_6_16_wgs_108_tpt_108_halfLds_sp_op_CI_CI_unitstride_sbrr_R2C_dirReg
                                        ; -- End function
	.section	.AMDGPU.csdata,"",@progbits
; Kernel info:
; codeLenInByte = 11036
; NumSgprs: 41
; NumVgprs: 92
; ScratchSize: 0
; MemoryBound: 0
; FloatMode: 240
; IeeeMode: 1
; LDSByteSize: 0 bytes/workgroup (compile time only)
; SGPRBlocks: 5
; VGPRBlocks: 11
; NumSGPRsForWavesPerEU: 41
; NumVGPRsForWavesPerEU: 92
; Occupancy: 16
; WaveLimiterHint : 1
; COMPUTE_PGM_RSRC2:SCRATCH_EN: 0
; COMPUTE_PGM_RSRC2:USER_SGPR: 2
; COMPUTE_PGM_RSRC2:TRAP_HANDLER: 0
; COMPUTE_PGM_RSRC2:TGID_X_EN: 1
; COMPUTE_PGM_RSRC2:TGID_Y_EN: 0
; COMPUTE_PGM_RSRC2:TGID_Z_EN: 0
; COMPUTE_PGM_RSRC2:TIDIG_COMP_CNT: 0
	.text
	.p2alignl 7, 3214868480
	.fill 96, 4, 3214868480
	.type	__hip_cuid_26fba6af5245f136,@object ; @__hip_cuid_26fba6af5245f136
	.section	.bss,"aw",@nobits
	.globl	__hip_cuid_26fba6af5245f136
__hip_cuid_26fba6af5245f136:
	.byte	0                               ; 0x0
	.size	__hip_cuid_26fba6af5245f136, 1

	.ident	"AMD clang version 19.0.0git (https://github.com/RadeonOpenCompute/llvm-project roc-6.4.0 25133 c7fe45cf4b819c5991fe208aaa96edf142730f1d)"
	.section	".note.GNU-stack","",@progbits
	.addrsig
	.addrsig_sym __hip_cuid_26fba6af5245f136
	.amdgpu_metadata
---
amdhsa.kernels:
  - .args:
      - .actual_access:  read_only
        .address_space:  global
        .offset:         0
        .size:           8
        .value_kind:     global_buffer
      - .offset:         8
        .size:           8
        .value_kind:     by_value
      - .actual_access:  read_only
        .address_space:  global
        .offset:         16
        .size:           8
        .value_kind:     global_buffer
      - .actual_access:  read_only
        .address_space:  global
        .offset:         24
        .size:           8
        .value_kind:     global_buffer
      - .actual_access:  read_only
        .address_space:  global
        .offset:         32
        .size:           8
        .value_kind:     global_buffer
      - .offset:         40
        .size:           8
        .value_kind:     by_value
      - .actual_access:  read_only
        .address_space:  global
        .offset:         48
        .size:           8
        .value_kind:     global_buffer
      - .actual_access:  read_only
        .address_space:  global
        .offset:         56
        .size:           8
        .value_kind:     global_buffer
      - .offset:         64
        .size:           4
        .value_kind:     by_value
      - .actual_access:  read_only
        .address_space:  global
        .offset:         72
        .size:           8
        .value_kind:     global_buffer
      - .actual_access:  read_only
        .address_space:  global
        .offset:         80
        .size:           8
        .value_kind:     global_buffer
      - .actual_access:  read_only
        .address_space:  global
        .offset:         88
        .size:           8
        .value_kind:     global_buffer
      - .actual_access:  write_only
        .address_space:  global
        .offset:         96
        .size:           8
        .value_kind:     global_buffer
    .group_segment_fixed_size: 0
    .kernarg_segment_align: 8
    .kernarg_segment_size: 104
    .language:       OpenCL C
    .language_version:
      - 2
      - 0
    .max_flat_workgroup_size: 108
    .name:           fft_rtc_fwd_len1728_factors_3_6_6_16_wgs_108_tpt_108_halfLds_sp_op_CI_CI_unitstride_sbrr_R2C_dirReg
    .private_segment_fixed_size: 0
    .sgpr_count:     41
    .sgpr_spill_count: 0
    .symbol:         fft_rtc_fwd_len1728_factors_3_6_6_16_wgs_108_tpt_108_halfLds_sp_op_CI_CI_unitstride_sbrr_R2C_dirReg.kd
    .uniform_work_group_size: 1
    .uses_dynamic_stack: false
    .vgpr_count:     92
    .vgpr_spill_count: 0
    .wavefront_size: 32
    .workgroup_processor_mode: 1
amdhsa.target:   amdgcn-amd-amdhsa--gfx1201
amdhsa.version:
  - 1
  - 2
...

	.end_amdgpu_metadata
